;; amdgpu-corpus repo=ROCm/rocFFT kind=compiled arch=gfx906 opt=O3
	.text
	.amdgcn_target "amdgcn-amd-amdhsa--gfx906"
	.amdhsa_code_object_version 6
	.protected	bluestein_single_back_len170_dim1_sp_op_CI_CI ; -- Begin function bluestein_single_back_len170_dim1_sp_op_CI_CI
	.globl	bluestein_single_back_len170_dim1_sp_op_CI_CI
	.p2align	8
	.type	bluestein_single_back_len170_dim1_sp_op_CI_CI,@function
bluestein_single_back_len170_dim1_sp_op_CI_CI: ; @bluestein_single_back_len170_dim1_sp_op_CI_CI
; %bb.0:
	v_mul_u32_u24_e32 v1, 0xf10, v0
	s_load_dwordx4 s[0:3], s[4:5], 0x28
	v_lshrrev_b32_e32 v1, 16, v1
	v_mad_u64_u32 v[48:49], s[6:7], s6, 7, v[1:2]
	v_mov_b32_e32 v49, 0
	s_waitcnt lgkmcnt(0)
	v_cmp_gt_u64_e32 vcc, s[0:1], v[48:49]
	s_and_saveexec_b64 s[0:1], vcc
	s_cbranch_execz .LBB0_15
; %bb.1:
	s_mov_b32 s0, 0x24924925
	v_mul_hi_u32 v2, v48, s0
	s_load_dwordx2 s[6:7], s[4:5], 0x0
	s_load_dwordx2 s[12:13], s[4:5], 0x38
	v_mul_lo_u16_e32 v1, 17, v1
	v_sub_u16_e32 v65, v0, v1
	v_sub_u32_e32 v3, v48, v2
	v_lshrrev_b32_e32 v3, 1, v3
	v_add_u32_e32 v2, v3, v2
	v_lshrrev_b32_e32 v2, 2, v2
	v_mul_lo_u32 v2, v2, 7
	v_cmp_gt_u16_e32 vcc, 10, v65
	v_lshlrev_b32_e32 v66, 3, v65
	v_sub_u32_e32 v0, v48, v2
	v_mul_u32_u24_e32 v46, 0xaa, v0
	v_lshlrev_b32_e32 v67, 3, v46
	s_and_saveexec_b64 s[14:15], vcc
	s_cbranch_execz .LBB0_3
; %bb.2:
	s_load_dwordx2 s[0:1], s[4:5], 0x18
	v_or_b32_e32 v28, 0x50, v65
	v_or_b32_e32 v70, 0xa0, v65
	s_waitcnt lgkmcnt(0)
	s_load_dwordx4 s[8:11], s[0:1], 0x0
	s_waitcnt lgkmcnt(0)
	v_mad_u64_u32 v[0:1], s[0:1], s10, v48, 0
	v_mad_u64_u32 v[2:3], s[0:1], s8, v65, 0
	;; [unrolled: 1-line block ×4, first 2 shown]
	v_mov_b32_e32 v1, v4
	v_lshlrev_b64 v[0:1], 3, v[0:1]
	v_mov_b32_e32 v3, v5
	v_mov_b32_e32 v6, s3
	v_lshlrev_b64 v[2:3], 3, v[2:3]
	v_add_co_u32_e64 v45, s[0:1], s2, v0
	v_addc_co_u32_e64 v47, s[0:1], v6, v1, s[0:1]
	v_add_co_u32_e64 v0, s[0:1], v45, v2
	v_addc_co_u32_e64 v1, s[0:1], v47, v3, s[0:1]
	s_mul_i32 s0, s9, 0x50
	s_mul_hi_u32 s3, s8, 0x50
	s_add_i32 s3, s3, s0
	s_mul_i32 s2, s8, 0x50
	v_mov_b32_e32 v3, s3
	v_add_co_u32_e64 v2, s[0:1], s2, v0
	v_addc_co_u32_e64 v3, s[0:1], v1, v3, s[0:1]
	v_mov_b32_e32 v5, s3
	v_add_co_u32_e64 v4, s[0:1], s2, v2
	v_addc_co_u32_e64 v5, s[0:1], v3, v5, s[0:1]
	;; [unrolled: 3-line block ×3, first 2 shown]
	global_load_dwordx2 v[8:9], v[0:1], off
	global_load_dwordx2 v[10:11], v[2:3], off
	;; [unrolled: 1-line block ×4, first 2 shown]
	global_load_dwordx2 v[16:17], v66, s[6:7]
	global_load_dwordx2 v[18:19], v66, s[6:7] offset:80
	global_load_dwordx2 v[20:21], v66, s[6:7] offset:160
	;; [unrolled: 1-line block ×3, first 2 shown]
	v_mov_b32_e32 v1, s3
	v_add_co_u32_e64 v0, s[0:1], s2, v6
	v_addc_co_u32_e64 v1, s[0:1], v7, v1, s[0:1]
	global_load_dwordx2 v[2:3], v[0:1], off
	v_mov_b32_e32 v4, s3
	v_add_co_u32_e64 v0, s[0:1], s2, v0
	v_addc_co_u32_e64 v1, s[0:1], v1, v4, s[0:1]
	global_load_dwordx2 v[4:5], v[0:1], off
	v_mov_b32_e32 v6, s3
	v_add_co_u32_e64 v0, s[0:1], s2, v0
	v_addc_co_u32_e64 v1, s[0:1], v1, v6, s[0:1]
	v_mad_u64_u32 v[24:25], s[0:1], s8, v28, 0
	global_load_dwordx2 v[6:7], v[0:1], off
	v_mov_b32_e32 v26, s3
	v_add_co_u32_e64 v0, s[0:1], s2, v0
	v_addc_co_u32_e64 v1, s[0:1], v1, v26, s[0:1]
	global_load_dwordx2 v[26:27], v[0:1], off
	s_waitcnt vmcnt(0)
	v_mad_u64_u32 v[28:29], s[0:1], s9, v28, v[25:26]
	global_load_dwordx2 v[29:30], v66, s[6:7] offset:320
	global_load_dwordx2 v[31:32], v66, s[6:7] offset:400
	;; [unrolled: 1-line block ×4, first 2 shown]
	v_mov_b32_e32 v25, v28
	v_lshlrev_b64 v[24:25], 3, v[24:25]
	v_mov_b32_e32 v28, 0xa0
	v_mad_u64_u32 v[0:1], s[0:1], s8, v28, v[0:1]
	v_add_co_u32_e64 v24, s[0:1], v45, v24
	v_addc_co_u32_e64 v25, s[0:1], v47, v25, s[0:1]
	s_mul_i32 s0, s9, 0xa0
	v_add_u32_e32 v1, s0, v1
	global_load_dwordx2 v[37:38], v[0:1], off
	v_mov_b32_e32 v28, s3
	v_add_co_u32_e64 v0, s[0:1], s2, v0
	v_addc_co_u32_e64 v1, s[0:1], v1, v28, s[0:1]
	global_load_dwordx2 v[39:40], v[0:1], off
	v_add_co_u32_e64 v0, s[0:1], s2, v0
	v_addc_co_u32_e64 v1, s[0:1], v1, v28, s[0:1]
	global_load_dwordx2 v[24:25], v[24:25], off
	s_nop 0
	global_load_dwordx2 v[41:42], v[0:1], off
	global_load_dwordx2 v[43:44], v66, s[6:7] offset:640
	global_load_dwordx2 v[49:50], v66, s[6:7] offset:720
	;; [unrolled: 1-line block ×4, first 2 shown]
	v_add_co_u32_e64 v0, s[0:1], s2, v0
	v_addc_co_u32_e64 v1, s[0:1], v1, v28, s[0:1]
	global_load_dwordx2 v[55:56], v[0:1], off
	global_load_dwordx2 v[57:58], v66, s[6:7] offset:960
	v_add_co_u32_e64 v0, s[0:1], s2, v0
	v_addc_co_u32_e64 v1, s[0:1], v1, v28, s[0:1]
	global_load_dwordx2 v[59:60], v[0:1], off
	v_add_co_u32_e64 v0, s[0:1], s2, v0
	v_addc_co_u32_e64 v1, s[0:1], v1, v28, s[0:1]
	v_mad_u64_u32 v[63:64], s[0:1], s8, v70, 0
	global_load_dwordx2 v[61:62], v[0:1], off
	v_add_co_u32_e64 v0, s[0:1], s2, v0
	v_addc_co_u32_e64 v1, s[0:1], v1, v28, s[0:1]
	v_mov_b32_e32 v28, v64
	global_load_dwordx2 v[68:69], v66, s[6:7] offset:1040
	s_waitcnt vmcnt(16)
	v_mad_u64_u32 v[70:71], s[0:1], s9, v70, v[28:29]
	global_load_dwordx2 v[71:72], v[0:1], off
	global_load_dwordx2 v[73:74], v66, s[6:7] offset:1120
	global_load_dwordx2 v[75:76], v66, s[6:7] offset:1200
	v_lshl_add_u32 v28, v65, 3, v67
	v_mov_b32_e32 v64, v70
	v_lshlrev_b64 v[0:1], 3, v[63:64]
	v_add_co_u32_e64 v0, s[0:1], v45, v0
	v_addc_co_u32_e64 v1, s[0:1], v47, v1, s[0:1]
	global_load_dwordx2 v[63:64], v[0:1], off
	global_load_dwordx2 v[77:78], v66, s[6:7] offset:1280
	v_mul_f32_e32 v0, v9, v17
	v_mul_f32_e32 v1, v8, v17
	v_fmac_f32_e32 v0, v8, v16
	v_fma_f32 v1, v9, v16, -v1
	ds_write_b64 v28, v[0:1]
	v_mul_f32_e32 v0, v11, v19
	v_mul_f32_e32 v1, v10, v19
	v_mul_f32_e32 v8, v13, v21
	v_mul_f32_e32 v9, v12, v21
	v_fmac_f32_e32 v0, v10, v18
	v_add_u32_e32 v16, v67, v66
	v_fma_f32 v1, v11, v18, -v1
	v_fmac_f32_e32 v8, v12, v20
	v_fma_f32 v9, v13, v20, -v9
	ds_write2_b64 v16, v[0:1], v[8:9] offset0:10 offset1:20
	v_mul_f32_e32 v8, v3, v30
	v_mul_f32_e32 v0, v15, v23
	;; [unrolled: 1-line block ×3, first 2 shown]
	v_fmac_f32_e32 v8, v2, v29
	v_mul_f32_e32 v2, v2, v30
	v_fmac_f32_e32 v0, v14, v22
	v_fma_f32 v1, v15, v22, -v1
	v_fma_f32 v9, v3, v29, -v2
	ds_write2_b64 v16, v[0:1], v[8:9] offset0:30 offset1:40
	s_waitcnt vmcnt(20)
	v_mul_f32_e32 v0, v5, v32
	v_mul_f32_e32 v1, v4, v32
	s_waitcnt vmcnt(19)
	v_mul_f32_e32 v2, v7, v34
	v_mul_f32_e32 v3, v6, v34
	v_fmac_f32_e32 v0, v4, v31
	v_fma_f32 v1, v5, v31, -v1
	v_fmac_f32_e32 v2, v6, v33
	v_fma_f32 v3, v7, v33, -v3
	ds_write2_b64 v16, v[0:1], v[2:3] offset0:50 offset1:60
	s_waitcnt vmcnt(18)
	v_mul_f32_e32 v0, v27, v36
	v_mul_f32_e32 v1, v26, v36
	s_waitcnt vmcnt(13)
	v_mul_f32_e32 v2, v25, v44
	v_mul_f32_e32 v3, v24, v44
	v_fmac_f32_e32 v0, v26, v35
	v_fma_f32 v1, v27, v35, -v1
	v_fmac_f32_e32 v2, v24, v43
	;; [unrolled: 11-line block ×4, first 2 shown]
	v_fma_f32 v3, v56, v57, -v3
	ds_write2_b64 v16, v[0:1], v[2:3] offset0:110 offset1:120
	s_waitcnt vmcnt(5)
	v_mul_f32_e32 v0, v60, v69
	v_mul_f32_e32 v1, v59, v69
	v_fmac_f32_e32 v0, v59, v68
	v_fma_f32 v1, v60, v68, -v1
	s_waitcnt vmcnt(3)
	v_mul_f32_e32 v2, v62, v74
	v_mul_f32_e32 v3, v61, v74
	v_fmac_f32_e32 v2, v61, v73
	v_fma_f32 v3, v62, v73, -v3
	ds_write2_b64 v16, v[0:1], v[2:3] offset0:130 offset1:140
	s_waitcnt vmcnt(2)
	v_mul_f32_e32 v0, v72, v76
	v_mul_f32_e32 v1, v71, v76
	v_fmac_f32_e32 v0, v71, v75
	v_fma_f32 v1, v72, v75, -v1
	s_waitcnt vmcnt(0)
	v_mul_f32_e32 v2, v64, v78
	v_mul_f32_e32 v3, v63, v78
	v_fmac_f32_e32 v2, v63, v77
	v_fma_f32 v3, v64, v77, -v3
	ds_write2_b64 v16, v[0:1], v[2:3] offset0:150 offset1:160
.LBB0_3:
	s_or_b64 exec, exec, s[14:15]
	s_load_dwordx2 s[0:1], s[4:5], 0x20
	s_load_dwordx2 s[8:9], s[4:5], 0x8
	v_mov_b32_e32 v12, 0
	v_mov_b32_e32 v13, 0
	s_waitcnt lgkmcnt(0)
	s_barrier
	s_waitcnt lgkmcnt(0)
                                        ; implicit-def: $vgpr18
                                        ; implicit-def: $vgpr20
                                        ; implicit-def: $vgpr36
                                        ; implicit-def: $vgpr40
                                        ; implicit-def: $vgpr44
                                        ; implicit-def: $vgpr34
                                        ; implicit-def: $vgpr30
                                        ; implicit-def: $vgpr26
	s_and_saveexec_b64 s[2:3], vcc
	s_cbranch_execz .LBB0_5
; %bb.4:
	v_lshl_add_u32 v0, v46, 3, v66
	ds_read2_b64 v[12:15], v0 offset1:10
	ds_read2_b64 v[24:27], v0 offset0:20 offset1:30
	ds_read2_b64 v[28:31], v0 offset0:40 offset1:50
	;; [unrolled: 1-line block ×7, first 2 shown]
	ds_read_b64 v[44:45], v0 offset:1280
.LBB0_5:
	s_or_b64 exec, exec, s[2:3]
	s_waitcnt lgkmcnt(0)
	v_sub_f32_e32 v84, v15, v45
	v_mul_f32_e32 v53, 0xbeb8f4ab, v84
	v_sub_f32_e32 v88, v25, v43
	v_add_f32_e32 v47, v44, v14
	v_sub_f32_e32 v86, v14, v44
	v_mov_b32_e32 v0, v53
	v_mul_f32_e32 v57, 0xbf2c7751, v88
	v_add_f32_e32 v51, v45, v15
	s_mov_b32 s4, 0x3f6eb680
	v_mul_f32_e32 v55, 0xbeb8f4ab, v86
	v_fmac_f32_e32 v0, 0x3f6eb680, v47
	v_add_f32_e32 v52, v42, v24
	v_sub_f32_e32 v93, v24, v42
	v_mov_b32_e32 v2, v57
	v_add_f32_e32 v0, v0, v12
	v_fma_f32 v1, v51, s4, -v55
	s_mov_b32 s5, 0x3f3d2fb0
	v_add_f32_e32 v54, v43, v25
	v_mul_f32_e32 v59, 0xbf2c7751, v93
	v_fmac_f32_e32 v2, 0x3f3d2fb0, v52
	v_sub_f32_e32 v102, v27, v41
	v_add_f32_e32 v1, v1, v13
	v_add_f32_e32 v0, v2, v0
	v_fma_f32 v2, v54, s5, -v59
	v_mul_f32_e32 v61, 0xbf65296c, v102
	v_add_f32_e32 v1, v2, v1
	v_add_f32_e32 v56, v40, v26
	v_sub_f32_e32 v107, v26, v40
	v_mov_b32_e32 v2, v61
	s_mov_b32 s10, 0x3ee437d1
	v_add_f32_e32 v58, v41, v27
	v_mul_f32_e32 v63, 0xbf65296c, v107
	v_fmac_f32_e32 v2, 0x3ee437d1, v56
	v_sub_f32_e32 v109, v29, v39
	v_add_f32_e32 v0, v2, v0
	v_fma_f32 v2, v58, s10, -v63
	v_mul_f32_e32 v69, 0xbf7ee86f, v109
	v_add_f32_e32 v1, v2, v1
	v_add_f32_e32 v60, v38, v28
	v_sub_f32_e32 v117, v28, v38
	v_mov_b32_e32 v2, v69
	s_mov_b32 s11, 0x3dbcf732
	v_add_f32_e32 v62, v39, v29
	v_mul_f32_e32 v71, 0xbf7ee86f, v117
	v_fmac_f32_e32 v2, 0x3dbcf732, v60
	v_sub_f32_e32 v120, v31, v37
	;; [unrolled: 12-line block ×5, first 2 shown]
	v_add_f32_e32 v0, v2, v0
	v_fma_f32 v2, v78, s16, -v83
	v_mul_f32_e32 v85, 0xbe3c28d5, v156
	v_add_f32_e32 v1, v2, v1
	v_add_f32_e32 v80, v18, v16
	v_mov_b32_e32 v2, v85
	v_sub_f32_e32 v162, v16, v18
	s_mov_b32 s17, 0xbf7ba420
	v_fmac_f32_e32 v2, 0xbf7ba420, v80
	v_add_f32_e32 v82, v19, v17
	v_mul_f32_e32 v87, 0xbe3c28d5, v162
	v_add_f32_e32 v49, v2, v0
	v_fma_f32 v0, v82, s17, -v87
	v_mul_f32_e32 v89, 0xbf2c7751, v84
	v_add_f32_e32 v50, v0, v1
	v_mov_b32_e32 v0, v89
	v_mul_f32_e32 v90, 0xbf7ee86f, v88
	v_fmac_f32_e32 v0, 0x3f3d2fb0, v47
	v_mov_b32_e32 v1, v90
	v_add_f32_e32 v0, v0, v12
	v_fmac_f32_e32 v1, 0x3dbcf732, v52
	v_mul_f32_e32 v95, 0xbf2c7751, v86
	v_add_f32_e32 v0, v1, v0
	v_fma_f32 v1, v51, s5, -v95
	v_mul_f32_e32 v96, 0xbf7ee86f, v93
	v_add_f32_e32 v1, v1, v13
	v_fma_f32 v2, v54, s11, -v96
	v_mul_f32_e32 v91, 0xbf4c4adb, v102
	v_add_f32_e32 v1, v2, v1
	v_mov_b32_e32 v2, v91
	v_fmac_f32_e32 v2, 0xbf1a4643, v56
	v_mul_f32_e32 v98, 0xbf4c4adb, v107
	v_add_f32_e32 v0, v2, v0
	v_fma_f32 v2, v58, s15, -v98
	v_mul_f32_e32 v92, 0xbe3c28d5, v109
	v_add_f32_e32 v1, v2, v1
	v_mov_b32_e32 v2, v92
	v_fmac_f32_e32 v2, 0xbf7ba420, v60
	;; [unrolled: 7-line block ×6, first 2 shown]
	v_mul_f32_e32 v106, 0x3eb8f4ab, v162
	v_mul_f32_e32 v108, 0xbf65296c, v84
	v_fma_f32 v3, v82, s4, -v106
	v_add_f32_e32 v2, v2, v0
	v_mov_b32_e32 v0, v108
	v_mul_f32_e32 v110, 0xbf4c4adb, v88
	v_add_f32_e32 v3, v3, v1
	v_fmac_f32_e32 v0, 0x3ee437d1, v47
	v_mov_b32_e32 v1, v110
	v_add_f32_e32 v0, v0, v12
	v_fmac_f32_e32 v1, 0xbf1a4643, v52
	v_mul_f32_e32 v111, 0x3e3c28d5, v102
	v_add_f32_e32 v0, v1, v0
	v_mov_b32_e32 v1, v111
	v_fmac_f32_e32 v1, 0xbf7ba420, v56
	v_mul_f32_e32 v112, 0x3f763a35, v109
	v_add_f32_e32 v0, v1, v0
	v_mov_b32_e32 v1, v112
	;; [unrolled: 4-line block ×6, first 2 shown]
	v_fmac_f32_e32 v1, 0xbf59a7d5, v80
	v_mul_f32_e32 v118, 0xbf65296c, v86
	v_add_f32_e32 v0, v1, v0
	v_fma_f32 v1, v51, s10, -v118
	v_mul_f32_e32 v119, 0xbf4c4adb, v93
	v_add_f32_e32 v1, v1, v13
	v_fma_f32 v4, v54, s15, -v119
	;; [unrolled: 3-line block ×8, first 2 shown]
	v_mul_f32_e32 v128, 0xbf7ee86f, v84
	v_add_f32_e32 v1, v4, v1
	v_mov_b32_e32 v4, v128
	v_mul_f32_e32 v129, 0xbe3c28d5, v88
	v_fmac_f32_e32 v4, 0x3dbcf732, v47
	v_mov_b32_e32 v5, v129
	v_add_f32_e32 v4, v4, v12
	v_fmac_f32_e32 v5, 0xbf7ba420, v52
	v_mul_f32_e32 v134, 0xbf7ee86f, v86
	v_add_f32_e32 v4, v5, v4
	v_fma_f32 v5, v51, s11, -v134
	v_mul_f32_e32 v135, 0xbe3c28d5, v93
	v_add_f32_e32 v5, v5, v13
	v_fma_f32 v6, v54, s17, -v135
	v_mul_f32_e32 v130, 0x3f763a35, v102
	v_add_f32_e32 v5, v6, v5
	v_mov_b32_e32 v6, v130
	v_fmac_f32_e32 v6, 0xbe8c1d8e, v56
	v_mul_f32_e32 v137, 0x3f763a35, v107
	v_add_f32_e32 v4, v6, v4
	v_fma_f32 v6, v58, s14, -v137
	v_mul_f32_e32 v132, 0x3eb8f4ab, v109
	v_add_f32_e32 v5, v6, v5
	v_mov_b32_e32 v6, v132
	v_fmac_f32_e32 v6, 0x3f6eb680, v60
	;; [unrolled: 7-line block ×6, first 2 shown]
	v_mul_f32_e32 v145, 0x3f2c7751, v162
	v_mul_f32_e32 v148, 0xbf763a35, v84
	v_fma_f32 v7, v82, s5, -v145
	v_add_f32_e32 v6, v6, v4
	v_mov_b32_e32 v4, v148
	v_mul_f32_e32 v149, 0x3f06c442, v88
	v_add_f32_e32 v7, v7, v5
	v_fmac_f32_e32 v4, 0xbe8c1d8e, v47
	v_mov_b32_e32 v5, v149
	v_add_f32_e32 v4, v4, v12
	v_fmac_f32_e32 v5, 0xbf59a7d5, v52
	v_mul_f32_e32 v150, 0x3f2c7751, v102
	v_add_f32_e32 v4, v5, v4
	v_mov_b32_e32 v5, v150
	v_fmac_f32_e32 v5, 0x3f3d2fb0, v56
	v_mul_f32_e32 v151, 0xbf65296c, v109
	v_add_f32_e32 v4, v5, v4
	v_mov_b32_e32 v5, v151
	;; [unrolled: 4-line block ×6, first 2 shown]
	v_fmac_f32_e32 v5, 0xbf1a4643, v80
	v_mul_f32_e32 v159, 0xbf763a35, v86
	v_add_f32_e32 v4, v5, v4
	v_fma_f32 v5, v51, s14, -v159
	v_mul_f32_e32 v160, 0x3f06c442, v93
	v_add_f32_e32 v5, v5, v13
	v_fma_f32 v8, v54, s16, -v160
	;; [unrolled: 3-line block ×8, first 2 shown]
	v_mul_f32_e32 v166, 0xbf4c4adb, v84
	v_add_f32_e32 v5, v8, v5
	v_mov_b32_e32 v8, v166
	v_mul_f32_e32 v167, 0x3f763a35, v88
	v_fmac_f32_e32 v8, 0xbf1a4643, v47
	v_mov_b32_e32 v9, v167
	v_add_f32_e32 v8, v8, v12
	v_fmac_f32_e32 v9, 0xbe8c1d8e, v52
	v_mul_f32_e32 v176, 0xbf4c4adb, v86
	v_add_f32_e32 v8, v9, v8
	v_fma_f32 v9, v51, s15, -v176
	v_mul_f32_e32 v174, 0x3f763a35, v93
	v_add_f32_e32 v9, v9, v13
	v_fma_f32 v10, v54, s14, -v174
	v_mul_f32_e32 v168, 0xbeb8f4ab, v102
	v_add_f32_e32 v9, v10, v9
	v_mov_b32_e32 v10, v168
	v_fmac_f32_e32 v10, 0x3f6eb680, v56
	v_mul_f32_e32 v175, 0xbeb8f4ab, v107
	v_add_f32_e32 v8, v10, v8
	v_fma_f32 v10, v58, s4, -v175
	v_mul_f32_e32 v169, 0xbf06c442, v109
	v_add_f32_e32 v9, v10, v9
	v_mov_b32_e32 v10, v169
	v_fmac_f32_e32 v10, 0xbf59a7d5, v60
	;; [unrolled: 7-line block ×6, first 2 shown]
	v_mul_f32_e32 v181, 0x3f65296c, v162
	v_mul_f32_e32 v188, 0xbf06c442, v84
	v_fma_f32 v11, v82, s10, -v181
	v_add_f32_e32 v10, v10, v8
	v_mov_b32_e32 v8, v188
	v_mul_f32_e32 v189, 0x3f65296c, v88
	v_add_f32_e32 v11, v11, v9
	v_fmac_f32_e32 v8, 0xbf59a7d5, v47
	v_mov_b32_e32 v9, v189
	v_add_f32_e32 v8, v8, v12
	v_fmac_f32_e32 v9, 0x3ee437d1, v52
	v_mul_f32_e32 v187, 0xbf7ee86f, v102
	v_add_f32_e32 v8, v9, v8
	v_mov_b32_e32 v9, v187
	v_fmac_f32_e32 v9, 0x3dbcf732, v56
	v_mul_f32_e32 v186, 0x3f4c4adb, v109
	v_add_f32_e32 v8, v9, v8
	v_mov_b32_e32 v9, v186
	;; [unrolled: 4-line block ×6, first 2 shown]
	v_fmac_f32_e32 v9, 0xbe8c1d8e, v80
	v_mul_f32_e32 v197, 0xbf06c442, v86
	v_add_f32_e32 v8, v9, v8
	v_fma_f32 v9, v51, s16, -v197
	v_mul_f32_e32 v196, 0x3f65296c, v93
	v_add_f32_e32 v9, v9, v13
	v_fma_f32 v68, v54, s10, -v196
	;; [unrolled: 3-line block ×8, first 2 shown]
	v_add_f32_e32 v9, v68, v9
	v_mul_lo_u16_e32 v68, 17, v65
	s_barrier
	s_and_saveexec_b64 s[2:3], vcc
	s_cbranch_execz .LBB0_7
; %bb.6:
	v_mul_f32_e32 v86, 0xbe3c28d5, v86
	v_mov_b32_e32 v245, v86
	v_mul_f32_e32 v246, 0x3eb8f4ab, v93
	v_fmac_f32_e32 v245, 0xbf7ba420, v51
	v_mov_b32_e32 v93, v246
	v_add_f32_e32 v245, v245, v13
	v_fmac_f32_e32 v93, 0x3f6eb680, v54
	v_mul_f32_e32 v107, 0xbf06c442, v107
	v_add_f32_e32 v93, v93, v245
	v_mov_b32_e32 v245, v107
	v_fmac_f32_e32 v245, 0xbf59a7d5, v58
	v_mul_f32_e32 v117, 0x3f2c7751, v117
	v_add_f32_e32 v93, v245, v93
	v_mov_b32_e32 v245, v117
	v_fmac_f32_e32 v245, 0x3f3d2fb0, v62
	v_mul_f32_e32 v127, 0xbf4c4adb, v127
	v_mul_f32_e32 v211, 0xbf59a7d5, v51
	v_add_f32_e32 v93, v245, v93
	v_mov_b32_e32 v245, v127
	v_mul_f32_e32 v225, 0x3ee437d1, v54
	v_fmac_f32_e32 v245, 0xbf1a4643, v70
	v_mul_f32_e32 v141, 0x3f65296c, v141
	v_mul_f32_e32 v248, 0x3f2c7751, v109
	v_add_f32_e32 v109, v197, v211
	v_mul_f32_e32 v239, 0x3dbcf732, v58
	v_add_f32_e32 v93, v245, v93
	v_mov_b32_e32 v245, v141
	v_mul_f32_e32 v251, 0x3f7ee86f, v156
	v_add_f32_e32 v156, v196, v225
	v_add_f32_e32 v109, v109, v13
	v_fmac_f32_e32 v245, 0x3ee437d1, v74
	v_add_f32_e32 v109, v156, v109
	v_add_f32_e32 v195, v195, v239
	v_mul_f32_e32 v210, 0xbf59a7d5, v47
	v_add_f32_e32 v93, v245, v93
	v_mul_f32_e32 v245, 0xbf763a35, v147
	v_add_f32_e32 v109, v195, v109
	v_mul_f32_e32 v195, 0xbf1a4643, v62
	v_mul_f32_e32 v224, 0x3ee437d1, v52
	v_mov_b32_e32 v147, v245
	v_add_f32_e32 v194, v194, v195
	v_sub_f32_e32 v188, v210, v188
	v_mul_f32_e32 v238, 0x3dbcf732, v56
	v_fmac_f32_e32 v147, 0xbe8c1d8e, v78
	v_mul_f32_e32 v162, 0x3f7ee86f, v162
	v_add_f32_e32 v109, v194, v109
	v_mul_f32_e32 v194, 0x3f6eb680, v70
	v_sub_f32_e32 v189, v224, v189
	v_add_f32_e32 v188, v188, v12
	v_add_f32_e32 v93, v147, v93
	v_mov_b32_e32 v147, v162
	v_mul_f32_e32 v247, 0xbe3c28d5, v84
	v_add_f32_e32 v193, v193, v194
	v_mul_f32_e32 v194, 0xbf1a4643, v60
	v_add_f32_e32 v188, v189, v188
	v_sub_f32_e32 v187, v238, v187
	v_fmac_f32_e32 v147, 0x3dbcf732, v82
	v_fma_f32 v84, v47, s17, -v247
	v_mul_f32_e32 v88, 0x3eb8f4ab, v88
	v_add_f32_e32 v187, v187, v188
	v_sub_f32_e32 v186, v194, v186
	v_add_f32_e32 v147, v147, v93
	v_add_f32_e32 v84, v84, v12
	v_fma_f32 v93, v52, s4, -v88
	v_mul_f32_e32 v102, 0xbf06c442, v102
	v_add_f32_e32 v186, v186, v187
	v_mul_f32_e32 v187, 0x3f6eb680, v64
	v_mul_f32_e32 v208, 0xbf1a4643, v47
	v_add_f32_e32 v84, v93, v84
	v_fma_f32 v93, v56, s16, -v102
	v_sub_f32_e32 v185, v187, v185
	v_mul_f32_e32 v222, 0xbe8c1d8e, v52
	v_add_f32_e32 v84, v93, v84
	v_fma_f32 v93, v60, s5, -v248
	v_mul_f32_e32 v120, 0xbf4c4adb, v120
	v_add_f32_e32 v109, v193, v109
	v_mul_f32_e32 v193, 0xbf7ba420, v74
	v_add_f32_e32 v185, v185, v186
	v_mul_f32_e32 v186, 0xbf7ba420, v72
	v_sub_f32_e32 v166, v208, v166
	v_mul_f32_e32 v236, 0x3f6eb680, v56
	v_add_f32_e32 v84, v93, v84
	v_fma_f32 v93, v64, s15, -v120
	v_mul_f32_e32 v249, 0x3f65296c, v131
	v_add_f32_e32 v192, v192, v193
	v_sub_f32_e32 v184, v186, v184
	v_sub_f32_e32 v167, v222, v167
	v_add_f32_e32 v166, v166, v12
	v_mul_f32_e32 v204, 0x3dbcf732, v47
	v_add_f32_e32 v84, v93, v84
	v_fma_f32 v93, v72, s10, -v249
	v_mul_f32_e32 v250, 0xbf763a35, v146
	v_mul_f32_e32 v197, 0xbf59a7d5, v60
	v_add_f32_e32 v109, v192, v109
	v_mul_f32_e32 v192, 0x3f3d2fb0, v78
	v_add_f32_e32 v184, v184, v185
	;; [unrolled: 2-line block ×3, first 2 shown]
	v_sub_f32_e32 v167, v236, v168
	v_mul_f32_e32 v218, 0xbf7ba420, v52
	v_add_f32_e32 v84, v93, v84
	v_fma_f32 v93, v76, s14, -v250
	v_add_f32_e32 v191, v191, v192
	v_mul_f32_e32 v186, 0x3dbcf732, v64
	v_sub_f32_e32 v183, v185, v183
	v_mul_f32_e32 v185, 0x3dbcf732, v70
	v_add_f32_e32 v166, v167, v166
	v_sub_f32_e32 v167, v197, v169
	v_sub_f32_e32 v128, v204, v128
	v_mul_f32_e32 v232, 0xbe8c1d8e, v56
	v_add_f32_e32 v84, v93, v84
	v_fma_f32 v93, v80, s11, -v251
	v_add_f32_e32 v109, v191, v109
	v_mul_f32_e32 v191, 0xbe8c1d8e, v82
	v_add_f32_e32 v178, v178, v185
	v_mul_f32_e32 v185, 0x3f3d2fb0, v72
	v_add_f32_e32 v166, v167, v166
	v_sub_f32_e32 v167, v186, v170
	v_add_f32_e32 v128, v128, v12
	v_sub_f32_e32 v129, v218, v129
	v_mul_f32_e32 v209, 0xbf1a4643, v51
	v_add_f32_e32 v146, v93, v84
	v_mul_f32_e32 v93, 0x3f6eb680, v60
	v_add_f32_e32 v190, v190, v191
	v_add_f32_e32 v184, v183, v184
	v_mul_f32_e32 v183, 0xbe8c1d8e, v80
	v_mul_f32_e32 v170, 0xbf7ba420, v76
	v_add_f32_e32 v166, v167, v166
	v_sub_f32_e32 v167, v185, v171
	v_add_f32_e32 v128, v129, v128
	v_sub_f32_e32 v129, v232, v130
	v_mul_f32_e32 v223, 0xbe8c1d8e, v54
	v_mul_f32_e32 v224, 0x3ee437d1, v64
	v_sub_f32_e32 v182, v183, v182
	v_add_f32_e32 v183, v190, v109
	v_add_f32_e32 v109, v176, v209
	;; [unrolled: 1-line block ×3, first 2 shown]
	v_sub_f32_e32 v167, v170, v172
	v_add_f32_e32 v128, v129, v128
	v_sub_f32_e32 v93, v93, v132
	v_mul_f32_e32 v237, 0x3f6eb680, v58
	v_add_f32_e32 v174, v174, v223
	v_add_f32_e32 v109, v109, v13
	v_mul_f32_e32 v223, 0xbf59a7d5, v72
	v_add_f32_e32 v166, v167, v166
	v_mul_f32_e32 v167, 0x3ee437d1, v80
	v_add_f32_e32 v93, v93, v128
	v_sub_f32_e32 v128, v224, v133
	v_mul_f32_e32 v195, 0xbf59a7d5, v62
	v_add_f32_e32 v109, v174, v109
	v_add_f32_e32 v175, v175, v237
	v_mul_f32_e32 v168, 0xbf1a4643, v76
	v_sub_f32_e32 v172, v167, v173
	v_add_f32_e32 v93, v128, v93
	v_sub_f32_e32 v128, v223, v136
	v_add_f32_e32 v109, v175, v109
	v_add_f32_e32 v177, v177, v195
	;; [unrolled: 1-line block ×3, first 2 shown]
	v_mul_f32_e32 v172, 0x3f3d2fb0, v80
	v_add_f32_e32 v93, v128, v93
	v_sub_f32_e32 v128, v168, v138
	v_mul_f32_e32 v203, 0x3ee437d1, v51
	v_add_f32_e32 v109, v177, v109
	v_add_f32_e32 v93, v128, v93
	v_sub_f32_e32 v128, v172, v140
	v_mul_f32_e32 v217, 0xbf1a4643, v54
	v_add_f32_e32 v109, v178, v109
	v_mul_f32_e32 v178, 0x3f3d2fb0, v74
	v_add_f32_e32 v130, v128, v93
	v_add_f32_e32 v93, v118, v203
	v_mul_f32_e32 v231, 0xbf7ba420, v58
	v_add_f32_e32 v178, v179, v178
	v_add_f32_e32 v93, v93, v13
	v_add_f32_e32 v118, v119, v217
	v_mul_f32_e32 v84, 0xbe8c1d8e, v62
	v_add_f32_e32 v109, v178, v109
	v_mul_f32_e32 v178, 0xbf7ba420, v78
	v_add_f32_e32 v93, v118, v93
	v_add_f32_e32 v118, v121, v231
	v_mul_f32_e32 v189, 0x3f3d2fb0, v70
	v_add_f32_e32 v178, v180, v178
	v_add_f32_e32 v93, v118, v93
	;; [unrolled: 1-line block ×3, first 2 shown]
	v_mul_f32_e32 v174, 0x3f6eb680, v74
	v_add_f32_e32 v109, v178, v109
	v_mul_f32_e32 v178, 0x3ee437d1, v82
	v_add_f32_e32 v84, v84, v93
	v_add_f32_e32 v93, v123, v189
	v_add_f32_e32 v178, v181, v178
	v_mul_f32_e32 v237, 0x3dbcf732, v78
	v_add_f32_e32 v84, v93, v84
	v_add_f32_e32 v93, v124, v174
	;; [unrolled: 4-line block ×3, first 2 shown]
	v_mul_f32_e32 v202, 0x3ee437d1, v47
	v_add_f32_e32 v84, v93, v84
	v_add_f32_e32 v93, v126, v109
	v_mul_f32_e32 v216, 0xbf1a4643, v52
	v_add_f32_e32 v109, v93, v84
	v_sub_f32_e32 v84, v202, v108
	v_mul_f32_e32 v230, 0xbf7ba420, v56
	v_add_f32_e32 v84, v84, v12
	v_sub_f32_e32 v93, v216, v110
	;; [unrolled: 3-line block ×8, first 2 shown]
	v_mul_f32_e32 v215, 0x3dbcf732, v54
	v_add_f32_e32 v108, v93, v84
	v_add_f32_e32 v84, v95, v201
	v_mul_f32_e32 v229, 0xbf1a4643, v58
	v_add_f32_e32 v84, v84, v13
	v_add_f32_e32 v93, v96, v215
	;; [unrolled: 3-line block ×7, first 2 shown]
	v_mul_f32_e32 v199, 0x3f6eb680, v51
	v_mul_f32_e32 v200, 0x3f3d2fb0, v47
	v_add_f32_e32 v84, v93, v84
	v_add_f32_e32 v93, v106, v170
	v_mul_f32_e32 v213, 0x3f3d2fb0, v54
	v_mul_f32_e32 v214, 0x3dbcf732, v52
	v_add_f32_e32 v93, v93, v84
	v_sub_f32_e32 v84, v200, v89
	v_add_f32_e32 v55, v55, v199
	v_add_f32_e32 v15, v15, v13
	v_add_f32_e32 v14, v14, v12
	v_mul_f32_e32 v227, 0x3ee437d1, v58
	v_mul_f32_e32 v228, 0xbf1a4643, v56
	v_add_f32_e32 v84, v84, v12
	v_sub_f32_e32 v89, v214, v90
	v_add_f32_e32 v55, v55, v13
	v_add_f32_e32 v59, v59, v213
	v_add_f32_e32 v15, v25, v15
	v_add_f32_e32 v14, v24, v14
	v_mul_f32_e32 v241, 0x3dbcf732, v62
	v_mul_f32_e32 v242, 0xbf7ba420, v60
	v_add_f32_e32 v84, v89, v84
	v_sub_f32_e32 v89, v228, v91
	v_add_f32_e32 v55, v59, v55
	;; [unrolled: 8-line block ×3, first 2 shown]
	v_add_f32_e32 v59, v71, v241
	v_add_f32_e32 v15, v29, v15
	;; [unrolled: 1-line block ×4, first 2 shown]
	v_mul_f32_e32 v184, 0xbf1a4643, v74
	v_mul_f32_e32 v190, 0xbe8c1d8e, v72
	v_add_f32_e32 v84, v89, v84
	v_sub_f32_e32 v89, v191, v94
	v_add_f32_e32 v55, v59, v55
	v_add_f32_e32 v59, v75, v192
	;; [unrolled: 1-line block ×4, first 2 shown]
	v_mul_f32_e32 v180, 0xbf59a7d5, v78
	v_mul_f32_e32 v181, 0x3ee437d1, v76
	v_add_f32_e32 v84, v89, v84
	v_sub_f32_e32 v89, v190, v97
	v_add_f32_e32 v55, v59, v55
	v_add_f32_e32 v59, v79, v184
	;; [unrolled: 1-line block ×4, first 2 shown]
	v_mul_f32_e32 v198, 0x3f6eb680, v47
	v_mul_f32_e32 v205, 0x3dbcf732, v51
	;; [unrolled: 1-line block ×5, first 2 shown]
	v_add_f32_e32 v84, v89, v84
	v_sub_f32_e32 v89, v181, v99
	v_add_f32_e32 v55, v59, v55
	v_add_f32_e32 v59, v83, v180
	;; [unrolled: 1-line block ×4, first 2 shown]
	v_mul_f32_e32 v206, 0xbe8c1d8e, v47
	v_mul_f32_e32 v212, 0x3f3d2fb0, v52
	v_add_f32_e32 v159, v159, v207
	v_add_f32_e32 v134, v134, v205
	;; [unrolled: 1-line block ×3, first 2 shown]
	v_sub_f32_e32 v89, v185, v101
	v_add_f32_e32 v55, v59, v55
	v_add_f32_e32 v59, v87, v171
	v_sub_f32_e32 v53, v198, v53
	v_add_f32_e32 v15, v17, v15
	v_add_f32_e32 v14, v16, v14
	v_fma_f32 v16, v51, s17, -v86
	v_mul_f32_e32 v219, 0xbf7ba420, v54
	v_mul_f32_e32 v220, 0xbf59a7d5, v52
	;; [unrolled: 1-line block ×4, first 2 shown]
	v_add_f32_e32 v159, v159, v13
	v_sub_f32_e32 v148, v206, v148
	v_add_f32_e32 v134, v134, v13
	v_add_f32_e32 v92, v89, v84
	;; [unrolled: 1-line block ×4, first 2 shown]
	v_sub_f32_e32 v55, v212, v57
	v_add_f32_e32 v15, v19, v15
	v_add_f32_e32 v14, v18, v14
	;; [unrolled: 1-line block ×3, first 2 shown]
	v_fma_f32 v16, v54, s4, -v246
	v_fmac_f32_e32 v247, 0xbf7ba420, v47
	v_mul_f32_e32 v233, 0xbe8c1d8e, v58
	v_mul_f32_e32 v234, 0x3f3d2fb0, v56
	;; [unrolled: 1-line block ×4, first 2 shown]
	v_add_f32_e32 v160, v160, v221
	v_add_f32_e32 v148, v148, v12
	v_sub_f32_e32 v149, v220, v149
	v_add_f32_e32 v135, v135, v219
	v_add_f32_e32 v53, v55, v53
	v_sub_f32_e32 v55, v226, v61
	v_add_f32_e32 v15, v21, v15
	v_add_f32_e32 v14, v20, v14
	v_add_f32_e32 v13, v16, v13
	v_fma_f32 v16, v58, s16, -v107
	v_add_f32_e32 v12, v247, v12
	v_fmac_f32_e32 v88, 0x3f6eb680, v52
	v_mul_f32_e32 v131, 0x3f6eb680, v62
	v_mul_f32_e32 v196, 0x3ee437d1, v60
	v_mul_f32_e32 v156, 0x3ee437d1, v62
	v_mul_f32_e32 v193, 0xbe8c1d8e, v64
	v_add_f32_e32 v159, v160, v159
	v_add_f32_e32 v157, v157, v235
	v_add_f32_e32 v148, v149, v148
	v_sub_f32_e32 v149, v234, v150
	v_add_f32_e32 v134, v135, v134
	v_add_f32_e32 v135, v137, v233
	v_add_f32_e32 v53, v55, v53
	v_sub_f32_e32 v55, v240, v69
	v_add_f32_e32 v15, v23, v15
	v_add_f32_e32 v14, v22, v14
	v_add_f32_e32 v13, v16, v13
	v_fma_f32 v16, v62, s5, -v117
	v_add_f32_e32 v12, v88, v12
	v_fmac_f32_e32 v102, 0xbf59a7d5, v56
	v_mul_f32_e32 v188, 0x3ee437d1, v70
	v_mul_f32_e32 v194, 0xbf7ba420, v64
	v_mul_f32_e32 v187, 0xbf7ba420, v70
	v_mul_f32_e32 v225, 0xbf1a4643, v72
	v_add_f32_e32 v157, v157, v159
	v_add_f32_e32 v156, v158, v156
	v_add_f32_e32 v148, v149, v148
	v_sub_f32_e32 v149, v196, v151
	v_add_f32_e32 v134, v135, v134
	;; [unrolled: 18-line block ×4, first 2 shown]
	v_add_f32_e32 v134, v143, v175
	v_add_f32_e32 v53, v55, v53
	v_sub_f32_e32 v55, v179, v81
	v_add_f32_e32 v15, v41, v15
	v_add_f32_e32 v14, v40, v14
	;; [unrolled: 1-line block ×3, first 2 shown]
	v_fma_f32 v16, v78, s14, -v245
	v_add_f32_e32 v12, v120, v12
	v_fmac_f32_e32 v249, 0x3ee437d1, v72
	v_mul_f32_e32 v178, 0x3f3d2fb0, v82
	v_mul_f32_e32 v207, 0xbf1a4643, v80
	;; [unrolled: 1-line block ×3, first 2 shown]
	v_add_f32_e32 v156, v157, v156
	v_add_f32_e32 v157, v164, v197
	;; [unrolled: 1-line block ×3, first 2 shown]
	v_sub_f32_e32 v149, v169, v154
	v_add_f32_e32 v131, v134, v131
	v_add_f32_e32 v134, v144, v236
	;; [unrolled: 1-line block ×3, first 2 shown]
	v_sub_f32_e32 v55, v186, v85
	v_add_f32_e32 v15, v43, v15
	v_add_f32_e32 v14, v42, v14
	;; [unrolled: 1-line block ×3, first 2 shown]
	v_fma_f32 v16, v82, s11, -v162
	v_add_f32_e32 v12, v249, v12
	v_fmac_f32_e32 v250, 0xbe8c1d8e, v76
	v_add_f32_e32 v156, v157, v156
	v_add_f32_e32 v157, v165, v160
	;; [unrolled: 1-line block ×3, first 2 shown]
	v_sub_f32_e32 v149, v207, v155
	v_add_f32_e32 v131, v134, v131
	v_add_f32_e32 v134, v145, v178
	;; [unrolled: 1-line block ×7, first 2 shown]
	v_fmac_f32_e32 v251, 0x3dbcf732, v80
	v_add_lshl_u32 v16, v46, v68, 3
	v_add_f32_e32 v156, v157, v156
	v_add_f32_e32 v155, v149, v148
	;; [unrolled: 1-line block ×4, first 2 shown]
	ds_write2_b64 v16, v[14:15], v[83:84] offset1:1
	ds_write2_b64 v16, v[92:93], v[108:109] offset0:2 offset1:3
	ds_write2_b64 v16, v[130:131], v[155:156] offset0:4 offset1:5
	;; [unrolled: 1-line block ×7, first 2 shown]
	ds_write_b64 v16, v[49:50] offset:128
.LBB0_7:
	s_or_b64 exec, exec, s[2:3]
	v_mov_b32_e32 v13, s9
	s_movk_i32 s4, 0x48
	v_mov_b32_e32 v12, s8
	v_mad_u64_u32 v[28:29], s[4:5], v65, s4, v[12:13]
	s_load_dwordx4 s[0:3], s[0:1], 0x0
	s_waitcnt lgkmcnt(0)
	s_barrier
	global_load_dwordx4 v[24:27], v[28:29], off
	global_load_dwordx4 v[20:23], v[28:29], off offset:16
	global_load_dwordx4 v[16:19], v[28:29], off offset:32
	;; [unrolled: 1-line block ×3, first 2 shown]
	global_load_dwordx2 v[51:52], v[28:29], off offset:64
	v_add_lshl_u32 v70, v46, v65, 3
	ds_read2_b64 v[28:31], v70 offset1:17
	ds_read2_b64 v[32:35], v70 offset0:34 offset1:51
	ds_read2_b64 v[36:39], v70 offset0:68 offset1:85
	;; [unrolled: 1-line block ×4, first 2 shown]
	s_mov_b32 s8, 0x3f737871
	s_mov_b32 s9, 0x3f167918
	;; [unrolled: 1-line block ×4, first 2 shown]
	s_waitcnt vmcnt(4) lgkmcnt(4)
	v_mul_f32_e32 v53, v31, v25
	v_mul_f32_e32 v54, v30, v25
	s_waitcnt lgkmcnt(3)
	v_mul_f32_e32 v55, v33, v27
	s_waitcnt vmcnt(3)
	v_mul_f32_e32 v57, v35, v21
	s_waitcnt lgkmcnt(2)
	v_mul_f32_e32 v59, v37, v23
	s_waitcnt vmcnt(2) lgkmcnt(1)
	v_mul_f32_e32 v63, v41, v19
	s_waitcnt vmcnt(1) lgkmcnt(0)
	v_mul_f32_e32 v72, v45, v15
	v_mul_f32_e32 v56, v32, v27
	;; [unrolled: 1-line block ×6, first 2 shown]
	v_fma_f32 v53, v30, v24, -v53
	v_fmac_f32_e32 v54, v31, v24
	v_fma_f32 v30, v32, v26, -v55
	v_fma_f32 v31, v34, v20, -v57
	;; [unrolled: 1-line block ×5, first 2 shown]
	v_mul_f32_e32 v62, v38, v17
	v_mul_f32_e32 v64, v40, v19
	;; [unrolled: 1-line block ×3, first 2 shown]
	s_waitcnt vmcnt(0)
	v_mul_f32_e32 v74, v47, v52
	v_fmac_f32_e32 v58, v35, v20
	v_fma_f32 v35, v42, v12, -v69
	v_fmac_f32_e32 v71, v43, v12
	v_sub_f32_e32 v42, v30, v32
	v_sub_f32_e32 v43, v36, v34
	v_add_f32_e32 v44, v30, v36
	v_mul_f32_e32 v61, v39, v17
	v_mul_f32_e32 v75, v46, v52
	v_fmac_f32_e32 v60, v37, v22
	v_fmac_f32_e32 v62, v39, v16
	;; [unrolled: 1-line block ×4, first 2 shown]
	v_fma_f32 v37, v46, v51, -v74
	v_add_f32_e32 v39, v32, v34
	v_sub_f32_e32 v45, v32, v30
	v_sub_f32_e32 v46, v34, v36
	v_add_f32_e32 v42, v42, v43
	v_fma_f32 v43, -0.5, v44, v28
	v_fmac_f32_e32 v56, v33, v26
	v_fma_f32 v33, v38, v16, -v61
	v_add_f32_e32 v38, v28, v30
	v_sub_f32_e32 v41, v60, v64
	v_fma_f32 v39, -0.5, v39, v28
	v_add_f32_e32 v28, v45, v46
	v_mov_b32_e32 v46, v43
	v_sub_f32_e32 v40, v56, v73
	v_fmac_f32_e32 v43, 0x3f737871, v41
	v_fmac_f32_e32 v46, 0xbf737871, v41
	;; [unrolled: 1-line block ×4, first 2 shown]
	v_mov_b32_e32 v45, v39
	v_fmac_f32_e32 v43, 0x3e9e377a, v28
	v_fmac_f32_e32 v46, 0x3e9e377a, v28
	v_add_f32_e32 v28, v60, v64
	v_fmac_f32_e32 v39, 0xbf737871, v40
	v_fmac_f32_e32 v45, 0x3f737871, v40
	v_fma_f32 v55, -0.5, v28, v29
	v_add_f32_e32 v38, v38, v32
	v_fmac_f32_e32 v39, 0xbf167918, v41
	v_fmac_f32_e32 v45, 0x3f167918, v41
	v_sub_f32_e32 v28, v30, v36
	v_mov_b32_e32 v41, v55
	v_add_f32_e32 v38, v38, v34
	v_fmac_f32_e32 v41, 0xbf737871, v28
	v_sub_f32_e32 v30, v32, v34
	v_sub_f32_e32 v32, v56, v60
	;; [unrolled: 1-line block ×3, first 2 shown]
	v_fmac_f32_e32 v55, 0x3f737871, v28
	v_fmac_f32_e32 v41, 0xbf167918, v30
	v_add_f32_e32 v32, v32, v34
	v_fmac_f32_e32 v55, 0x3f167918, v30
	v_fmac_f32_e32 v41, 0x3e9e377a, v32
	;; [unrolled: 1-line block ×3, first 2 shown]
	v_add_f32_e32 v32, v56, v73
	v_fma_f32 v57, -0.5, v32, v29
	v_mov_b32_e32 v59, v57
	v_fmac_f32_e32 v59, 0x3f737871, v30
	v_fmac_f32_e32 v57, 0xbf737871, v30
	;; [unrolled: 1-line block ×4, first 2 shown]
	v_add_f32_e32 v28, v53, v31
	v_add_f32_e32 v28, v28, v33
	v_fmac_f32_e32 v75, v47, v51
	v_add_f32_e32 v47, v29, v56
	v_add_f32_e32 v28, v28, v35
	;; [unrolled: 1-line block ×6, first 2 shown]
	v_fmac_f32_e32 v39, 0x3e9e377a, v42
	v_fmac_f32_e32 v45, 0x3e9e377a, v42
	v_sub_f32_e32 v29, v60, v56
	v_sub_f32_e32 v32, v64, v73
	v_fma_f32 v42, -0.5, v28, v53
	v_add_f32_e32 v47, v44, v73
	v_add_f32_e32 v29, v29, v32
	v_sub_f32_e32 v28, v58, v75
	v_mov_b32_e32 v44, v42
	v_fmac_f32_e32 v59, 0x3e9e377a, v29
	v_fmac_f32_e32 v57, 0x3e9e377a, v29
	;; [unrolled: 1-line block ×3, first 2 shown]
	v_sub_f32_e32 v29, v62, v71
	v_sub_f32_e32 v30, v31, v33
	;; [unrolled: 1-line block ×3, first 2 shown]
	v_fmac_f32_e32 v42, 0xbf737871, v28
	v_fmac_f32_e32 v44, 0x3f167918, v29
	v_add_f32_e32 v30, v30, v32
	v_fmac_f32_e32 v42, 0xbf167918, v29
	v_fmac_f32_e32 v44, 0x3e9e377a, v30
	;; [unrolled: 1-line block ×3, first 2 shown]
	v_add_f32_e32 v30, v31, v37
	v_fmac_f32_e32 v53, -0.5, v30
	v_mov_b32_e32 v56, v53
	v_fmac_f32_e32 v56, 0xbf737871, v29
	v_fmac_f32_e32 v53, 0x3f737871, v29
	;; [unrolled: 1-line block ×4, first 2 shown]
	v_add_f32_e32 v28, v54, v58
	v_add_f32_e32 v28, v28, v62
	;; [unrolled: 1-line block ×5, first 2 shown]
	v_sub_f32_e32 v30, v33, v31
	v_sub_f32_e32 v32, v35, v37
	v_fma_f32 v61, -0.5, v28, v54
	v_add_f32_e32 v30, v30, v32
	v_sub_f32_e32 v28, v31, v37
	v_mov_b32_e32 v31, v61
	v_fmac_f32_e32 v56, 0x3e9e377a, v30
	v_fmac_f32_e32 v53, 0x3e9e377a, v30
	;; [unrolled: 1-line block ×3, first 2 shown]
	v_sub_f32_e32 v29, v33, v35
	v_sub_f32_e32 v30, v58, v62
	v_sub_f32_e32 v32, v75, v71
	v_fmac_f32_e32 v61, 0x3f737871, v28
	v_fmac_f32_e32 v31, 0xbf167918, v29
	v_add_f32_e32 v30, v30, v32
	v_fmac_f32_e32 v61, 0x3f167918, v29
	v_fmac_f32_e32 v31, 0x3e9e377a, v30
	;; [unrolled: 1-line block ×3, first 2 shown]
	v_add_f32_e32 v30, v58, v75
	v_fmac_f32_e32 v54, -0.5, v30
	v_mov_b32_e32 v33, v54
	v_fmac_f32_e32 v33, 0x3f737871, v29
	v_sub_f32_e32 v30, v62, v58
	v_sub_f32_e32 v32, v71, v75
	v_fmac_f32_e32 v33, 0xbf167918, v28
	v_add_f32_e32 v30, v30, v32
	v_fmac_f32_e32 v54, 0xbf737871, v29
	v_fmac_f32_e32 v33, 0x3e9e377a, v30
	v_fmac_f32_e32 v54, 0x3f167918, v28
	v_fmac_f32_e32 v54, 0x3e9e377a, v30
	v_mul_f32_e32 v62, 0x3f737871, v33
	v_mul_f32_e32 v29, 0x3e9e377a, v53
	;; [unrolled: 1-line block ×3, first 2 shown]
	v_fmac_f32_e32 v62, 0x3e9e377a, v56
	v_fma_f32 v63, v54, s8, -v29
	v_mul_f32_e32 v29, 0x3f4f1bbd, v42
	v_mul_f32_e32 v69, 0xbf167918, v44
	;; [unrolled: 1-line block ×5, first 2 shown]
	v_add_f32_e32 v38, v38, v36
	v_fmac_f32_e32 v58, 0x3f4f1bbd, v44
	v_fma_f32 v64, v61, s9, -v29
	v_fmac_f32_e32 v69, 0x3f4f1bbd, v31
	v_fmac_f32_e32 v56, 0x3e9e377a, v33
	v_fma_f32 v53, v53, s4, -v35
	v_fma_f32 v54, v42, s5, -v37
	v_add_f32_e32 v28, v38, v40
	v_add_f32_e32 v30, v45, v58
	;; [unrolled: 1-line block ×10, first 2 shown]
	v_sub_f32_e32 v38, v38, v40
	v_sub_f32_e32 v40, v45, v58
	;; [unrolled: 1-line block ×10, first 2 shown]
	v_lshl_add_u32 v69, v65, 3, v67
	ds_write2_b64 v69, v[28:29], v[30:31] offset1:17
	ds_write2_b64 v69, v[32:33], v[34:35] offset0:34 offset1:51
	ds_write2_b64 v69, v[36:37], v[38:39] offset0:68 offset1:85
	;; [unrolled: 1-line block ×4, first 2 shown]
	s_waitcnt lgkmcnt(0)
	s_barrier
	s_and_saveexec_b64 s[4:5], vcc
	s_cbranch_execz .LBB0_9
; %bb.8:
	global_load_dwordx2 v[87:88], v66, s[6:7] offset:1360
	s_add_u32 s8, s6, 0x550
	s_addc_u32 s9, s7, 0
	global_load_dwordx2 v[89:90], v66, s[8:9] offset:80
	global_load_dwordx2 v[91:92], v66, s[8:9] offset:160
	;; [unrolled: 1-line block ×15, first 2 shown]
	ds_read2_b64 v[53:56], v69 offset1:10
	ds_read2_b64 v[57:60], v69 offset0:20 offset1:30
	global_load_dwordx2 v[119:120], v66, s[8:9] offset:1280
	ds_read2_b64 v[61:64], v69 offset0:40 offset1:50
	ds_read2_b64 v[71:74], v69 offset0:60 offset1:70
	;; [unrolled: 1-line block ×5, first 2 shown]
	s_waitcnt vmcnt(13) lgkmcnt(5)
	v_mul_f32_e32 v123, v60, v94
	s_waitcnt vmcnt(12) lgkmcnt(4)
	v_mul_f32_e32 v124, v62, v96
	s_waitcnt vmcnt(11)
	v_mul_f32_e32 v125, v64, v98
	s_waitcnt vmcnt(10) lgkmcnt(3)
	v_mul_f32_e32 v126, v72, v100
	s_waitcnt vmcnt(9)
	;; [unrolled: 4-line block ×4, first 2 shown]
	v_mul_f32_e32 v131, v82, v110
	v_mul_f32_e32 v121, v54, v88
	;; [unrolled: 1-line block ×3, first 2 shown]
	v_fma_f32 v121, v53, v87, -v121
	v_fmac_f32_e32 v122, v54, v87
	v_mul_f32_e32 v53, v56, v90
	v_mul_f32_e32 v54, v55, v90
	;; [unrolled: 1-line block ×13, first 2 shown]
	v_fma_f32 v53, v55, v89, -v53
	v_fmac_f32_e32 v54, v56, v89
	v_fma_f32 v87, v57, v91, -v87
	v_fmac_f32_e32 v88, v58, v91
	;; [unrolled: 2-line block ×11, first 2 shown]
	ds_write2_b64 v69, v[121:122], v[53:54] offset1:10
	ds_write2_b64 v69, v[87:88], v[89:90] offset0:20 offset1:30
	ds_write2_b64 v69, v[91:92], v[93:94] offset0:40 offset1:50
	;; [unrolled: 1-line block ×5, first 2 shown]
	ds_read2_b64 v[53:56], v69 offset0:140 offset1:150
	s_waitcnt vmcnt(4) lgkmcnt(7)
	v_mul_f32_e32 v110, v84, v112
	v_mul_f32_e32 v108, v83, v112
	s_waitcnt vmcnt(3)
	v_mul_f32_e32 v112, v86, v114
	v_mul_f32_e32 v58, v85, v114
	v_fma_f32 v107, v83, v111, -v110
	v_fmac_f32_e32 v108, v84, v111
	v_fma_f32 v57, v85, v113, -v112
	v_fmac_f32_e32 v58, v86, v113
	ds_write2_b64 v69, v[107:108], v[57:58] offset0:120 offset1:130
	s_waitcnt vmcnt(2) lgkmcnt(1)
	v_mul_f32_e32 v57, v54, v116
	v_mul_f32_e32 v58, v53, v116
	v_fma_f32 v57, v53, v115, -v57
	v_fmac_f32_e32 v58, v54, v115
	ds_read_b64 v[53:54], v69 offset:1280
	s_waitcnt vmcnt(1)
	v_mul_f32_e32 v59, v56, v118
	v_mul_f32_e32 v60, v55, v118
	v_fma_f32 v59, v55, v117, -v59
	v_fmac_f32_e32 v60, v56, v117
	s_waitcnt vmcnt(0) lgkmcnt(0)
	v_mul_f32_e32 v55, v54, v120
	v_mul_f32_e32 v56, v53, v120
	v_fma_f32 v55, v53, v119, -v55
	v_fmac_f32_e32 v56, v54, v119
	ds_write2_b64 v69, v[57:58], v[59:60] offset0:140 offset1:150
	ds_write_b64 v69, v[55:56] offset:1280
.LBB0_9:
	s_or_b64 exec, exec, s[4:5]
	s_waitcnt lgkmcnt(0)
	s_barrier
	s_and_saveexec_b64 s[4:5], vcc
	s_cbranch_execz .LBB0_11
; %bb.10:
	ds_read2_b64 v[28:31], v69 offset1:10
	ds_read2_b64 v[32:35], v69 offset0:20 offset1:30
	ds_read2_b64 v[36:39], v69 offset0:40 offset1:50
	;; [unrolled: 1-line block ×7, first 2 shown]
	ds_read_b64 v[49:50], v69 offset:1280
.LBB0_11:
	s_or_b64 exec, exec, s[4:5]
	s_waitcnt lgkmcnt(0)
	s_barrier
	s_and_saveexec_b64 s[4:5], vcc
	s_cbranch_execz .LBB0_13
; %bb.12:
	v_add_f32_e32 v113, v50, v31
	v_mul_f32_e32 v87, 0xbf7ba420, v113
	v_add_f32_e32 v114, v3, v33
	v_sub_f32_e32 v71, v30, v49
	v_mov_b32_e32 v53, v87
	v_mul_f32_e32 v88, 0x3f6eb680, v114
	v_fmac_f32_e32 v53, 0x3e3c28d5, v71
	v_sub_f32_e32 v72, v32, v2
	v_mov_b32_e32 v54, v88
	v_add_f32_e32 v115, v1, v35
	v_add_f32_e32 v53, v29, v53
	v_fmac_f32_e32 v54, 0xbeb8f4ab, v72
	v_mul_f32_e32 v89, 0xbf59a7d5, v115
	v_add_f32_e32 v53, v54, v53
	v_sub_f32_e32 v73, v34, v0
	v_mov_b32_e32 v54, v89
	v_add_f32_e32 v116, v7, v37
	v_fmac_f32_e32 v54, 0x3f06c442, v73
	v_mul_f32_e32 v90, 0x3f3d2fb0, v116
	v_add_f32_e32 v53, v54, v53
	v_sub_f32_e32 v74, v36, v6
	v_mov_b32_e32 v54, v90
	;; [unrolled: 6-line block ×6, first 2 shown]
	v_sub_f32_e32 v121, v31, v50
	v_fmac_f32_e32 v54, 0xbf7ee86f, v78
	v_mul_f32_e32 v95, 0xbe3c28d5, v121
	v_sub_f32_e32 v122, v33, v3
	v_add_f32_e32 v54, v54, v53
	v_add_f32_e32 v79, v49, v30
	v_mov_b32_e32 v53, v95
	v_mul_f32_e32 v96, 0x3eb8f4ab, v122
	v_fmac_f32_e32 v53, 0xbf7ba420, v79
	v_add_f32_e32 v80, v2, v32
	v_mov_b32_e32 v55, v96
	v_sub_f32_e32 v123, v35, v1
	v_add_f32_e32 v53, v28, v53
	v_fmac_f32_e32 v55, 0x3f6eb680, v80
	v_mul_f32_e32 v97, 0xbf06c442, v123
	v_add_f32_e32 v53, v55, v53
	v_add_f32_e32 v81, v0, v34
	v_mov_b32_e32 v55, v97
	v_sub_f32_e32 v124, v37, v7
	v_fmac_f32_e32 v55, 0xbf59a7d5, v81
	v_mul_f32_e32 v98, 0x3f2c7751, v124
	v_add_f32_e32 v53, v55, v53
	v_add_f32_e32 v82, v6, v36
	v_mov_b32_e32 v55, v98
	v_sub_f32_e32 v125, v39, v5
	;; [unrolled: 6-line block ×5, first 2 shown]
	v_fmac_f32_e32 v55, 0xbe8c1d8e, v85
	v_mul_f32_e32 v102, 0x3f7ee86f, v128
	v_add_f32_e32 v53, v55, v53
	v_add_f32_e32 v86, v46, v44
	v_mov_b32_e32 v55, v102
	v_fmac_f32_e32 v55, 0x3dbcf732, v86
	v_mul_f32_e32 v103, 0xbf59a7d5, v113
	v_add_f32_e32 v53, v55, v53
	v_mov_b32_e32 v55, v103
	v_mul_f32_e32 v104, 0x3ee437d1, v114
	v_fmac_f32_e32 v55, 0x3f06c442, v71
	v_mov_b32_e32 v56, v104
	v_add_f32_e32 v55, v29, v55
	v_fmac_f32_e32 v56, 0xbf65296c, v72
	v_mul_f32_e32 v105, 0x3dbcf732, v115
	v_add_f32_e32 v55, v56, v55
	v_mov_b32_e32 v56, v105
	v_fmac_f32_e32 v56, 0x3f7ee86f, v73
	v_mul_f32_e32 v106, 0xbf1a4643, v116
	v_add_f32_e32 v55, v56, v55
	v_mov_b32_e32 v56, v106
	v_fmac_f32_e32 v56, 0xbf4c4adb, v74
	v_mul_f32_e32 v107, 0x3f6eb680, v117
	v_add_f32_e32 v55, v56, v55
	v_mov_b32_e32 v56, v107
	v_fmac_f32_e32 v56, 0x3eb8f4ab, v75
	v_mul_f32_e32 v108, 0xbf7ba420, v118
	v_add_f32_e32 v55, v56, v55
	v_mov_b32_e32 v56, v108
	v_fmac_f32_e32 v56, 0x3e3c28d5, v76
	v_mul_f32_e32 v109, 0x3f3d2fb0, v119
	v_add_f32_e32 v55, v56, v55
	v_mov_b32_e32 v56, v109
	v_fmac_f32_e32 v56, 0xbf2c7751, v77
	v_mul_f32_e32 v110, 0xbe8c1d8e, v120
	v_add_f32_e32 v55, v56, v55
	v_mov_b32_e32 v56, v110
	v_fmac_f32_e32 v56, 0x3f763a35, v78
	v_mul_f32_e32 v129, 0xbf06c442, v121
	v_add_f32_e32 v56, v56, v55
	v_mov_b32_e32 v55, v129
	v_mul_f32_e32 v130, 0x3f65296c, v122
	v_fmac_f32_e32 v55, 0xbf59a7d5, v79
	v_mov_b32_e32 v57, v130
	v_add_f32_e32 v55, v28, v55
	v_fmac_f32_e32 v57, 0x3ee437d1, v80
	v_mul_f32_e32 v131, 0xbf7ee86f, v123
	v_add_f32_e32 v55, v57, v55
	v_mov_b32_e32 v57, v131
	v_fmac_f32_e32 v57, 0x3dbcf732, v81
	v_mul_f32_e32 v132, 0x3f4c4adb, v124
	v_add_f32_e32 v55, v57, v55
	v_mov_b32_e32 v57, v132
	v_fmac_f32_e32 v57, 0xbf1a4643, v82
	v_mul_f32_e32 v133, 0xbeb8f4ab, v125
	v_add_f32_e32 v55, v57, v55
	v_mov_b32_e32 v57, v133
	v_fmac_f32_e32 v57, 0x3f6eb680, v83
	v_mul_f32_e32 v134, 0xbe3c28d5, v126
	v_add_f32_e32 v55, v57, v55
	v_mov_b32_e32 v57, v134
	v_fmac_f32_e32 v57, 0xbf7ba420, v84
	v_mul_f32_e32 v135, 0x3f2c7751, v127
	v_add_f32_e32 v55, v57, v55
	v_mov_b32_e32 v57, v135
	v_fmac_f32_e32 v57, 0x3f3d2fb0, v85
	v_mul_f32_e32 v136, 0xbf763a35, v128
	;; [unrolled: 32-line block ×5, first 2 shown]
	v_add_f32_e32 v59, v60, v59
	v_mov_b32_e32 v60, v160
	v_fmac_f32_e32 v60, 0x3f4c4adb, v78
	v_mul_f32_e32 v161, 0xbf763a35, v121
	v_add_f32_e32 v60, v60, v59
	v_mov_b32_e32 v59, v161
	v_mul_f32_e32 v162, 0x3f06c442, v122
	v_fmac_f32_e32 v59, 0xbe8c1d8e, v79
	v_mov_b32_e32 v61, v162
	v_add_f32_e32 v31, v31, v29
	v_add_f32_e32 v59, v28, v59
	v_fmac_f32_e32 v61, 0xbf59a7d5, v80
	v_mul_f32_e32 v163, 0x3f2c7751, v123
	v_add_f32_e32 v31, v33, v31
	v_add_f32_e32 v59, v61, v59
	v_mov_b32_e32 v61, v163
	v_add_f32_e32 v31, v35, v31
	v_fmac_f32_e32 v61, 0x3f3d2fb0, v81
	v_mul_f32_e32 v164, 0xbf65296c, v124
	v_add_f32_e32 v31, v37, v31
	v_add_f32_e32 v59, v61, v59
	v_mov_b32_e32 v61, v164
	;; [unrolled: 6-line block ×7, first 2 shown]
	v_mul_f32_e32 v170, 0xbf7ba420, v114
	v_add_f32_e32 v1, v3, v1
	v_add_f32_e32 v3, v30, v28
	v_fmac_f32_e32 v61, 0x3f7ee86f, v71
	v_mov_b32_e32 v62, v170
	v_add_f32_e32 v3, v32, v3
	v_add_f32_e32 v61, v29, v61
	v_fmac_f32_e32 v62, 0x3e3c28d5, v72
	v_mul_f32_e32 v171, 0xbe8c1d8e, v115
	v_add_f32_e32 v3, v34, v3
	v_add_f32_e32 v61, v62, v61
	v_mov_b32_e32 v62, v171
	v_add_f32_e32 v3, v36, v3
	v_fmac_f32_e32 v62, 0xbf763a35, v73
	v_mul_f32_e32 v172, 0x3f6eb680, v116
	v_add_f32_e32 v3, v38, v3
	v_add_f32_e32 v61, v62, v61
	v_mov_b32_e32 v62, v172
	v_add_f32_e32 v3, v40, v3
	v_fmac_f32_e32 v62, 0xbeb8f4ab, v74
	v_mul_f32_e32 v173, 0x3ee437d1, v117
	v_add_f32_e32 v3, v42, v3
	v_add_f32_e32 v61, v62, v61
	v_mov_b32_e32 v62, v173
	v_add_f32_e32 v3, v44, v3
	v_fmac_f32_e32 v62, 0x3f65296c, v75
	v_mul_f32_e32 v174, 0xbf59a7d5, v118
	v_add_f32_e32 v3, v46, v3
	v_add_f32_e32 v61, v62, v61
	v_mov_b32_e32 v62, v174
	v_add_f32_e32 v3, v8, v3
	v_fmac_f32_e32 v62, 0x3f06c442, v76
	v_mul_f32_e32 v175, 0xbf1a4643, v119
	v_add_f32_e32 v3, v10, v3
	v_add_f32_e32 v61, v62, v61
	v_mov_b32_e32 v62, v175
	v_add_f32_e32 v3, v4, v3
	v_fmac_f32_e32 v62, 0xbf4c4adb, v77
	v_mul_f32_e32 v176, 0x3f3d2fb0, v120
	v_add_f32_e32 v3, v6, v3
	v_add_f32_e32 v61, v62, v61
	v_mov_b32_e32 v62, v176
	v_add_f32_e32 v0, v0, v3
	v_fmac_f32_e32 v87, 0xbe3c28d5, v71
	v_fmac_f32_e32 v62, 0xbf2c7751, v78
	v_mul_f32_e32 v177, 0xbf7ee86f, v121
	v_add_f32_e32 v0, v2, v0
	v_add_f32_e32 v2, v29, v87
	v_fmac_f32_e32 v88, 0x3eb8f4ab, v72
	v_add_f32_e32 v62, v62, v61
	v_mov_b32_e32 v61, v177
	v_mul_f32_e32 v178, 0xbe3c28d5, v122
	v_add_f32_e32 v2, v88, v2
	v_fmac_f32_e32 v89, 0xbf06c442, v73
	v_fmac_f32_e32 v61, 0x3dbcf732, v79
	v_mov_b32_e32 v63, v178
	v_add_f32_e32 v2, v89, v2
	v_fmac_f32_e32 v90, 0x3f2c7751, v74
	v_add_f32_e32 v61, v28, v61
	v_fmac_f32_e32 v63, 0xbf7ba420, v80
	v_mul_f32_e32 v179, 0x3f763a35, v123
	v_add_f32_e32 v2, v90, v2
	v_fmac_f32_e32 v91, 0xbf4c4adb, v75
	v_add_f32_e32 v61, v63, v61
	v_mov_b32_e32 v63, v179
	v_add_f32_e32 v2, v91, v2
	v_fmac_f32_e32 v92, 0x3f65296c, v76
	v_fmac_f32_e32 v63, 0xbe8c1d8e, v81
	v_mul_f32_e32 v180, 0x3eb8f4ab, v124
	v_add_f32_e32 v2, v92, v2
	v_fmac_f32_e32 v93, 0xbf763a35, v77
	s_mov_b32 s8, 0xbf7ba420
	v_add_f32_e32 v61, v63, v61
	v_mov_b32_e32 v63, v180
	v_add_f32_e32 v2, v93, v2
	v_fmac_f32_e32 v94, 0x3f7ee86f, v78
	s_mov_b32 s10, 0x3f6eb680
	v_fmac_f32_e32 v63, 0x3f6eb680, v82
	v_mul_f32_e32 v181, 0xbf65296c, v125
	v_add_f32_e32 v3, v94, v2
	v_fma_f32 v2, v79, s8, -v95
	s_mov_b32 s9, 0xbf59a7d5
	v_add_f32_e32 v61, v63, v61
	v_mov_b32_e32 v63, v181
	v_add_f32_e32 v2, v28, v2
	v_fma_f32 v4, v80, s10, -v96
	s_mov_b32 s14, 0x3f3d2fb0
	v_fmac_f32_e32 v63, 0x3ee437d1, v83
	v_mul_f32_e32 v182, 0xbf06c442, v126
	v_add_f32_e32 v2, v4, v2
	v_fma_f32 v4, v81, s9, -v97
	s_mov_b32 s11, 0xbf1a4643
	v_add_f32_e32 v61, v63, v61
	v_mov_b32_e32 v63, v182
	v_add_f32_e32 v2, v4, v2
	v_fma_f32 v4, v82, s14, -v98
	;; [unrolled: 10-line block ×3, first 2 shown]
	s_mov_b32 s17, 0x3dbcf732
	v_fmac_f32_e32 v63, 0xbf1a4643, v85
	v_mul_f32_e32 v184, 0x3f2c7751, v128
	v_add_f32_e32 v2, v4, v2
	v_fma_f32 v4, v85, s16, -v101
	v_add_f32_e32 v61, v63, v61
	v_mov_b32_e32 v63, v184
	v_add_f32_e32 v2, v4, v2
	v_fma_f32 v4, v86, s17, -v102
	v_fmac_f32_e32 v103, 0xbf06c442, v71
	v_fmac_f32_e32 v63, 0x3f3d2fb0, v86
	v_mul_f32_e32 v185, 0x3ee437d1, v113
	v_add_f32_e32 v2, v4, v2
	v_add_f32_e32 v4, v29, v103
	v_fmac_f32_e32 v104, 0x3f65296c, v72
	v_add_f32_e32 v61, v63, v61
	v_mov_b32_e32 v63, v185
	v_mul_f32_e32 v186, 0xbf1a4643, v114
	v_add_f32_e32 v4, v104, v4
	v_fmac_f32_e32 v105, 0xbf7ee86f, v73
	v_fmac_f32_e32 v63, 0x3f65296c, v71
	v_mov_b32_e32 v64, v186
	v_add_f32_e32 v4, v105, v4
	v_fmac_f32_e32 v106, 0x3f4c4adb, v74
	v_add_f32_e32 v63, v29, v63
	v_fmac_f32_e32 v64, 0x3f4c4adb, v72
	v_mul_f32_e32 v187, 0xbf7ba420, v115
	v_add_f32_e32 v4, v106, v4
	v_fmac_f32_e32 v107, 0xbeb8f4ab, v75
	v_add_f32_e32 v63, v64, v63
	v_mov_b32_e32 v64, v187
	v_add_f32_e32 v4, v107, v4
	v_fmac_f32_e32 v108, 0xbe3c28d5, v76
	v_fmac_f32_e32 v64, 0xbe3c28d5, v73
	v_mul_f32_e32 v188, 0xbe8c1d8e, v116
	v_add_f32_e32 v4, v108, v4
	v_fmac_f32_e32 v109, 0x3f2c7751, v77
	v_add_f32_e32 v63, v64, v63
	v_mov_b32_e32 v64, v188
	v_add_f32_e32 v4, v109, v4
	v_fmac_f32_e32 v110, 0xbf763a35, v78
	v_fmac_f32_e32 v64, 0xbf763a35, v74
	v_mul_f32_e32 v189, 0x3f3d2fb0, v117
	v_add_f32_e32 v5, v110, v4
	v_fma_f32 v4, v79, s9, -v129
	v_add_f32_e32 v63, v64, v63
	v_mov_b32_e32 v64, v189
	v_add_f32_e32 v4, v28, v4
	v_fma_f32 v6, v80, s15, -v130
	v_fmac_f32_e32 v64, 0xbf2c7751, v75
	v_mul_f32_e32 v190, 0x3f6eb680, v118
	v_add_f32_e32 v4, v6, v4
	v_fma_f32 v6, v81, s17, -v131
	v_add_f32_e32 v63, v64, v63
	v_mov_b32_e32 v64, v190
	v_add_f32_e32 v4, v6, v4
	v_fma_f32 v6, v82, s11, -v132
	v_fmac_f32_e32 v64, 0x3eb8f4ab, v76
	v_mul_f32_e32 v191, 0x3dbcf732, v119
	v_add_f32_e32 v4, v6, v4
	v_fma_f32 v6, v83, s10, -v133
	v_add_f32_e32 v63, v64, v63
	v_mov_b32_e32 v64, v191
	v_add_f32_e32 v4, v6, v4
	v_fma_f32 v6, v84, s8, -v134
	v_fmac_f32_e32 v64, 0x3f7ee86f, v77
	v_mul_f32_e32 v192, 0xbf59a7d5, v120
	v_add_f32_e32 v4, v6, v4
	v_fma_f32 v6, v85, s14, -v135
	v_add_f32_e32 v63, v64, v63
	v_mov_b32_e32 v64, v192
	v_add_f32_e32 v4, v6, v4
	v_fma_f32 v6, v86, s16, -v136
	v_fmac_f32_e32 v137, 0xbf4c4adb, v71
	v_fmac_f32_e32 v64, 0x3f06c442, v78
	v_mul_f32_e32 v193, 0xbf65296c, v121
	v_add_f32_e32 v4, v6, v4
	v_add_f32_e32 v6, v29, v137
	v_fmac_f32_e32 v138, 0x3f763a35, v72
	v_add_f32_e32 v64, v64, v63
	v_mov_b32_e32 v63, v193
	v_mul_f32_e32 v194, 0xbf4c4adb, v122
	v_add_f32_e32 v6, v138, v6
	v_fmac_f32_e32 v139, 0xbeb8f4ab, v73
	v_fmac_f32_e32 v63, 0x3ee437d1, v79
	v_mov_b32_e32 v111, v194
	v_add_f32_e32 v6, v139, v6
	v_fmac_f32_e32 v140, 0xbf06c442, v74
	v_add_f32_e32 v63, v28, v63
	v_fmac_f32_e32 v111, 0xbf1a4643, v80
	v_mul_f32_e32 v195, 0x3e3c28d5, v123
	v_add_f32_e32 v6, v140, v6
	v_fmac_f32_e32 v141, 0x3f7ee86f, v75
	v_add_f32_e32 v63, v111, v63
	v_mov_b32_e32 v111, v195
	v_add_f32_e32 v6, v141, v6
	v_fmac_f32_e32 v142, 0xbf2c7751, v76
	v_fmac_f32_e32 v111, 0xbf7ba420, v81
	v_mul_f32_e32 v196, 0x3f763a35, v124
	v_add_f32_e32 v6, v142, v6
	v_fmac_f32_e32 v143, 0xbe3c28d5, v77
	v_add_f32_e32 v63, v111, v63
	v_mov_b32_e32 v111, v196
	v_add_f32_e32 v6, v143, v6
	v_fmac_f32_e32 v144, 0x3f65296c, v78
	v_fmac_f32_e32 v111, 0xbe8c1d8e, v82
	v_mul_f32_e32 v197, 0x3f2c7751, v125
	v_add_f32_e32 v7, v144, v6
	v_fma_f32 v6, v79, s11, -v145
	v_add_f32_e32 v63, v111, v63
	v_mov_b32_e32 v111, v197
	v_add_f32_e32 v6, v28, v6
	v_fma_f32 v8, v80, s16, -v146
	v_fmac_f32_e32 v111, 0x3f3d2fb0, v83
	v_mul_f32_e32 v198, 0xbeb8f4ab, v126
	v_add_f32_e32 v6, v8, v6
	v_fma_f32 v8, v81, s10, -v147
	v_add_f32_e32 v63, v111, v63
	v_mov_b32_e32 v111, v198
	v_add_f32_e32 v6, v8, v6
	v_fma_f32 v8, v82, s9, -v148
	v_fmac_f32_e32 v111, 0x3f6eb680, v84
	v_mul_f32_e32 v199, 0xbf7ee86f, v127
	v_add_f32_e32 v6, v8, v6
	v_fma_f32 v8, v83, s17, -v149
	v_add_f32_e32 v63, v111, v63
	v_mov_b32_e32 v111, v199
	v_add_f32_e32 v6, v8, v6
	v_fma_f32 v8, v84, s14, -v150
	;; [unrolled: 64-line block ×3, first 2 shown]
	v_fmac_f32_e32 v112, 0xbf65296c, v77
	v_mul_f32_e32 v208, 0x3f6eb680, v120
	v_add_f32_e32 v8, v10, v8
	v_fma_f32 v10, v85, s10, -v167
	v_add_f32_e32 v111, v112, v111
	v_mov_b32_e32 v112, v208
	v_add_f32_e32 v8, v10, v8
	v_fma_f32 v10, v86, s11, -v168
	v_fmac_f32_e32 v169, 0xbf7ee86f, v71
	v_fmac_f32_e32 v112, 0xbeb8f4ab, v78
	v_mul_f32_e32 v209, 0xbf2c7751, v121
	v_add_f32_e32 v8, v10, v8
	v_add_f32_e32 v10, v29, v169
	v_fmac_f32_e32 v170, 0xbe3c28d5, v72
	v_add_f32_e32 v112, v112, v111
	v_mov_b32_e32 v111, v209
	v_mul_f32_e32 v210, 0xbf7ee86f, v122
	v_add_f32_e32 v10, v170, v10
	v_fmac_f32_e32 v171, 0x3f763a35, v73
	v_fmac_f32_e32 v111, 0x3f3d2fb0, v79
	v_mov_b32_e32 v211, v210
	v_add_f32_e32 v10, v171, v10
	v_fmac_f32_e32 v172, 0x3eb8f4ab, v74
	v_add_f32_e32 v111, v28, v111
	v_fmac_f32_e32 v211, 0x3dbcf732, v80
	;; [unrolled: 2-line block ×3, first 2 shown]
	v_add_f32_e32 v111, v211, v111
	v_mul_f32_e32 v211, 0xbf4c4adb, v123
	v_add_f32_e32 v10, v173, v10
	v_fmac_f32_e32 v174, 0xbf06c442, v76
	v_mov_b32_e32 v212, v211
	v_add_f32_e32 v10, v174, v10
	v_fmac_f32_e32 v175, 0x3f4c4adb, v77
	v_fmac_f32_e32 v212, 0xbf1a4643, v81
	v_add_f32_e32 v10, v175, v10
	v_fmac_f32_e32 v176, 0x3f2c7751, v78
	v_add_f32_e32 v111, v212, v111
	v_mul_f32_e32 v212, 0xbe3c28d5, v124
	v_add_f32_e32 v11, v176, v10
	v_fma_f32 v10, v79, s17, -v177
	v_mov_b32_e32 v213, v212
	v_add_f32_e32 v10, v28, v10
	v_fma_f32 v30, v80, s8, -v178
	v_fmac_f32_e32 v213, 0xbf7ba420, v82
	v_add_f32_e32 v10, v30, v10
	v_fma_f32 v30, v81, s16, -v179
	v_add_f32_e32 v111, v213, v111
	v_mul_f32_e32 v213, 0x3f06c442, v125
	v_add_f32_e32 v10, v30, v10
	v_fma_f32 v30, v82, s10, -v180
	v_mov_b32_e32 v214, v213
	v_add_f32_e32 v10, v30, v10
	v_fma_f32 v30, v83, s15, -v181
	v_fmac_f32_e32 v214, 0xbf59a7d5, v83
	v_add_f32_e32 v10, v30, v10
	v_fma_f32 v30, v84, s9, -v182
	v_add_f32_e32 v111, v214, v111
	v_mul_f32_e32 v214, 0x3f763a35, v126
	v_add_f32_e32 v10, v30, v10
	v_fma_f32 v30, v85, s11, -v183
	v_mov_b32_e32 v215, v214
	v_add_f32_e32 v10, v30, v10
	v_fma_f32 v30, v86, s14, -v184
	v_fmac_f32_e32 v185, 0xbf65296c, v71
	v_fmac_f32_e32 v215, 0xbe8c1d8e, v84
	v_add_f32_e32 v10, v30, v10
	v_add_f32_e32 v30, v29, v185
	v_fmac_f32_e32 v186, 0xbf4c4adb, v72
	v_add_f32_e32 v111, v215, v111
	v_mul_f32_e32 v215, 0x3f65296c, v127
	v_add_f32_e32 v30, v186, v30
	v_fmac_f32_e32 v187, 0x3e3c28d5, v73
	v_mov_b32_e32 v216, v215
	v_add_f32_e32 v30, v187, v30
	v_fmac_f32_e32 v188, 0x3f763a35, v74
	v_fmac_f32_e32 v216, 0x3ee437d1, v85
	v_add_f32_e32 v30, v188, v30
	v_fmac_f32_e32 v189, 0x3f2c7751, v75
	v_add_f32_e32 v111, v216, v111
	v_mul_f32_e32 v216, 0x3eb8f4ab, v128
	v_add_f32_e32 v30, v189, v30
	v_fmac_f32_e32 v190, 0xbeb8f4ab, v76
	v_mov_b32_e32 v217, v216
	v_add_f32_e32 v30, v190, v30
	v_fmac_f32_e32 v191, 0xbf7ee86f, v77
	v_fmac_f32_e32 v217, 0x3f6eb680, v86
	v_add_f32_e32 v30, v191, v30
	v_fmac_f32_e32 v192, 0xbf06c442, v78
	v_add_f32_e32 v111, v217, v111
	v_mul_f32_e32 v217, 0x3f6eb680, v113
	v_add_f32_e32 v31, v192, v30
	v_fma_f32 v30, v79, s15, -v193
	v_mov_b32_e32 v113, v217
	v_mul_f32_e32 v218, 0x3f3d2fb0, v114
	v_add_f32_e32 v30, v28, v30
	v_fma_f32 v32, v80, s11, -v194
	v_fmac_f32_e32 v113, 0x3eb8f4ab, v71
	v_mov_b32_e32 v114, v218
	v_add_f32_e32 v30, v32, v30
	v_fma_f32 v32, v81, s8, -v195
	v_add_f32_e32 v113, v29, v113
	v_fmac_f32_e32 v114, 0x3f2c7751, v72
	v_mul_f32_e32 v115, 0x3ee437d1, v115
	v_add_f32_e32 v30, v32, v30
	v_fma_f32 v32, v82, s16, -v196
	v_add_f32_e32 v113, v114, v113
	v_mov_b32_e32 v114, v115
	v_add_f32_e32 v30, v32, v30
	v_fma_f32 v32, v83, s14, -v197
	v_fmac_f32_e32 v114, 0x3f65296c, v73
	v_mul_f32_e32 v116, 0x3dbcf732, v116
	v_add_f32_e32 v30, v32, v30
	v_fma_f32 v32, v84, s10, -v198
	v_add_f32_e32 v113, v114, v113
	v_mov_b32_e32 v114, v116
	v_add_f32_e32 v30, v32, v30
	v_fma_f32 v32, v85, s17, -v199
	v_fmac_f32_e32 v114, 0x3f7ee86f, v74
	v_mul_f32_e32 v117, 0xbe8c1d8e, v117
	v_add_f32_e32 v30, v32, v30
	v_fma_f32 v32, v86, s9, -v200
	v_fmac_f32_e32 v201, 0xbf2c7751, v71
	v_add_f32_e32 v113, v114, v113
	v_mov_b32_e32 v114, v117
	v_add_f32_e32 v30, v32, v30
	v_add_f32_e32 v32, v29, v201
	v_fmac_f32_e32 v202, 0xbf7ee86f, v72
	v_fmac_f32_e32 v114, 0x3f763a35, v75
	v_mul_f32_e32 v118, 0xbf1a4643, v118
	v_add_f32_e32 v32, v202, v32
	v_fmac_f32_e32 v203, 0xbf4c4adb, v73
	v_add_f32_e32 v113, v114, v113
	v_mov_b32_e32 v114, v118
	v_add_f32_e32 v32, v203, v32
	v_fmac_f32_e32 v204, 0xbe3c28d5, v74
	v_fmac_f32_e32 v114, 0x3f4c4adb, v76
	v_mul_f32_e32 v119, 0xbf59a7d5, v119
	v_add_f32_e32 v32, v204, v32
	v_fmac_f32_e32 v205, 0x3f06c442, v75
	v_add_f32_e32 v113, v114, v113
	v_mov_b32_e32 v114, v119
	;; [unrolled: 8-line block ×3, first 2 shown]
	v_add_f32_e32 v32, v207, v32
	v_fmac_f32_e32 v208, 0x3eb8f4ab, v78
	v_fmac_f32_e32 v114, 0x3e3c28d5, v78
	v_mul_f32_e32 v121, 0xbeb8f4ab, v121
	v_add_f32_e32 v33, v208, v32
	v_fma_f32 v32, v79, s14, -v209
	v_add_f32_e32 v114, v114, v113
	v_mov_b32_e32 v113, v121
	v_mul_f32_e32 v122, 0xbf2c7751, v122
	v_add_f32_e32 v32, v28, v32
	v_fma_f32 v34, v80, s17, -v210
	v_fmac_f32_e32 v113, 0x3f6eb680, v79
	v_mov_b32_e32 v219, v122
	v_add_f32_e32 v32, v34, v32
	v_fma_f32 v34, v81, s11, -v211
	v_add_f32_e32 v113, v28, v113
	v_fmac_f32_e32 v219, 0x3f3d2fb0, v80
	v_mul_f32_e32 v123, 0xbf65296c, v123
	v_add_f32_e32 v32, v34, v32
	v_fma_f32 v34, v82, s8, -v212
	v_add_f32_e32 v113, v219, v113
	v_mov_b32_e32 v219, v123
	v_add_f32_e32 v32, v34, v32
	v_fma_f32 v34, v83, s9, -v213
	v_fmac_f32_e32 v219, 0x3ee437d1, v81
	v_mul_f32_e32 v124, 0xbf7ee86f, v124
	v_add_f32_e32 v32, v34, v32
	v_fma_f32 v34, v84, s16, -v214
	v_add_f32_e32 v113, v219, v113
	v_mov_b32_e32 v219, v124
	v_add_f32_e32 v32, v34, v32
	v_fma_f32 v34, v85, s15, -v215
	;; [unrolled: 8-line block ×3, first 2 shown]
	v_fmac_f32_e32 v219, 0xbe8c1d8e, v83
	v_mul_f32_e32 v126, 0xbf4c4adb, v126
	v_fmac_f32_e32 v217, 0xbeb8f4ab, v71
	v_add_f32_e32 v28, v28, v34
	v_fma_f32 v34, v80, s14, -v122
	v_add_f32_e32 v113, v219, v113
	v_mov_b32_e32 v219, v126
	v_add_f32_e32 v29, v29, v217
	v_fmac_f32_e32 v218, 0xbf2c7751, v72
	v_add_f32_e32 v28, v34, v28
	v_fma_f32 v34, v81, s15, -v123
	v_fmac_f32_e32 v219, 0xbf1a4643, v84
	v_mul_f32_e32 v127, 0xbf06c442, v127
	v_add_f32_e32 v29, v218, v29
	v_fmac_f32_e32 v115, 0xbf65296c, v73
	v_add_f32_e32 v28, v34, v28
	v_fma_f32 v34, v82, s17, -v124
	v_add_f32_e32 v113, v219, v113
	v_mov_b32_e32 v219, v127
	v_add_f32_e32 v29, v115, v29
	v_fmac_f32_e32 v116, 0xbf7ee86f, v74
	v_add_f32_e32 v28, v34, v28
	v_fma_f32 v34, v83, s16, -v125
	v_fmac_f32_e32 v219, 0xbf59a7d5, v85
	v_mul_f32_e32 v128, 0xbe3c28d5, v128
	v_add_f32_e32 v29, v116, v29
	v_fmac_f32_e32 v117, 0xbf763a35, v75
	v_add_f32_e32 v28, v34, v28
	v_fma_f32 v34, v84, s11, -v126
	v_add_f32_e32 v113, v219, v113
	v_mov_b32_e32 v219, v128
	v_add_f32_e32 v29, v117, v29
	v_fmac_f32_e32 v118, 0xbf4c4adb, v76
	v_add_f32_e32 v28, v34, v28
	v_fma_f32 v34, v85, s9, -v127
	v_fmac_f32_e32 v219, 0xbf7ba420, v86
	v_add_f32_e32 v29, v118, v29
	v_fmac_f32_e32 v119, 0xbf06c442, v77
	v_add_f32_e32 v28, v34, v28
	v_fma_f32 v34, v86, s8, -v128
	v_add_f32_e32 v113, v219, v113
	v_add_f32_e32 v1, v50, v1
	;; [unrolled: 1-line block ×4, first 2 shown]
	v_fmac_f32_e32 v120, 0xbe3c28d5, v78
	v_add_f32_e32 v28, v34, v28
	v_lshl_add_u32 v34, v68, 3, v67
	v_add_f32_e32 v29, v120, v29
	ds_write2_b64 v34, v[0:1], v[113:114] offset1:1
	ds_write2_b64 v34, v[111:112], v[63:64] offset0:2 offset1:3
	ds_write2_b64 v34, v[61:62], v[59:60] offset0:4 offset1:5
	;; [unrolled: 1-line block ×7, first 2 shown]
	ds_write_b64 v34, v[28:29] offset:128
.LBB0_13:
	s_or_b64 exec, exec, s[4:5]
	s_waitcnt lgkmcnt(0)
	s_barrier
	ds_read2_b64 v[0:3], v70 offset1:17
	ds_read2_b64 v[4:7], v70 offset0:34 offset1:51
	ds_read2_b64 v[8:11], v70 offset0:68 offset1:85
	;; [unrolled: 1-line block ×4, first 2 shown]
	s_waitcnt lgkmcnt(4)
	v_mul_f32_e32 v36, v25, v3
	v_fmac_f32_e32 v36, v24, v2
	v_mul_f32_e32 v2, v25, v2
	v_fma_f32 v24, v24, v3, -v2
	s_waitcnt lgkmcnt(3)
	v_mul_f32_e32 v2, v27, v5
	v_fmac_f32_e32 v2, v26, v4
	v_mul_f32_e32 v3, v27, v4
	v_mul_f32_e32 v4, v21, v7
	v_fma_f32 v3, v26, v5, -v3
	v_fmac_f32_e32 v4, v20, v6
	v_mul_f32_e32 v5, v21, v6
	s_waitcnt lgkmcnt(2)
	v_mul_f32_e32 v6, v23, v9
	v_fma_f32 v5, v20, v7, -v5
	v_fmac_f32_e32 v6, v22, v8
	v_mul_f32_e32 v7, v23, v8
	v_mul_f32_e32 v8, v17, v11
	v_fma_f32 v7, v22, v9, -v7
	v_fmac_f32_e32 v8, v16, v10
	v_mul_f32_e32 v9, v17, v10
	s_waitcnt lgkmcnt(1)
	v_mul_f32_e32 v10, v19, v29
	v_fma_f32 v9, v16, v11, -v9
	v_fmac_f32_e32 v10, v18, v28
	v_mul_f32_e32 v16, v13, v31
	v_mul_f32_e32 v13, v13, v30
	;; [unrolled: 1-line block ×3, first 2 shown]
	v_fmac_f32_e32 v16, v12, v30
	v_fma_f32 v12, v12, v31, -v13
	s_waitcnt lgkmcnt(0)
	v_mul_f32_e32 v13, v15, v33
	v_mul_f32_e32 v15, v15, v32
	v_add_f32_e32 v19, v6, v10
	v_fmac_f32_e32 v13, v14, v32
	v_fma_f32 v14, v14, v33, -v15
	v_fma_f32 v19, -0.5, v19, v0
	v_fma_f32 v11, v18, v29, -v11
	v_sub_f32_e32 v20, v3, v14
	v_mov_b32_e32 v21, v19
	v_fmac_f32_e32 v21, 0xbf737871, v20
	v_sub_f32_e32 v22, v7, v11
	v_sub_f32_e32 v23, v2, v6
	;; [unrolled: 1-line block ×3, first 2 shown]
	v_fmac_f32_e32 v19, 0x3f737871, v20
	v_fmac_f32_e32 v21, 0xbf167918, v22
	v_add_f32_e32 v23, v23, v25
	v_fmac_f32_e32 v19, 0x3f167918, v22
	v_fmac_f32_e32 v21, 0x3e9e377a, v23
	v_fmac_f32_e32 v19, 0x3e9e377a, v23
	v_add_f32_e32 v23, v2, v13
	v_fma_f32 v23, -0.5, v23, v0
	v_mov_b32_e32 v25, v23
	v_add_f32_e32 v18, v0, v2
	v_fmac_f32_e32 v25, 0x3f737871, v22
	v_sub_f32_e32 v0, v6, v2
	v_sub_f32_e32 v26, v10, v13
	v_fmac_f32_e32 v23, 0xbf737871, v22
	v_fmac_f32_e32 v25, 0xbf167918, v20
	v_add_f32_e32 v0, v0, v26
	v_fmac_f32_e32 v23, 0x3f167918, v20
	v_fmac_f32_e32 v25, 0x3e9e377a, v0
	;; [unrolled: 1-line block ×3, first 2 shown]
	v_add_f32_e32 v0, v1, v3
	v_add_f32_e32 v0, v0, v7
	;; [unrolled: 1-line block ×7, first 2 shown]
	v_fma_f32 v22, -0.5, v0, v1
	v_add_f32_e32 v18, v18, v13
	v_sub_f32_e32 v0, v2, v13
	v_mov_b32_e32 v13, v22
	v_fmac_f32_e32 v13, 0x3f737871, v0
	v_sub_f32_e32 v2, v6, v10
	v_sub_f32_e32 v6, v3, v7
	v_sub_f32_e32 v10, v14, v11
	v_fmac_f32_e32 v22, 0xbf737871, v0
	v_fmac_f32_e32 v13, 0x3f167918, v2
	v_add_f32_e32 v6, v6, v10
	v_fmac_f32_e32 v22, 0xbf167918, v2
	v_fmac_f32_e32 v13, 0x3e9e377a, v6
	v_fmac_f32_e32 v22, 0x3e9e377a, v6
	v_add_f32_e32 v6, v3, v14
	v_fma_f32 v26, -0.5, v6, v1
	v_mov_b32_e32 v27, v26
	v_fmac_f32_e32 v27, 0xbf737871, v2
	v_fmac_f32_e32 v26, 0x3f737871, v2
	;; [unrolled: 1-line block ×4, first 2 shown]
	v_add_f32_e32 v0, v36, v4
	v_mul_f32_e32 v15, v52, v35
	v_add_f32_e32 v0, v0, v8
	v_fmac_f32_e32 v15, v51, v34
	v_add_f32_e32 v0, v0, v16
	v_mul_f32_e32 v17, v52, v34
	v_add_f32_e32 v10, v0, v15
	v_add_f32_e32 v0, v8, v16
	v_fma_f32 v17, v51, v35, -v17
	v_sub_f32_e32 v1, v7, v3
	v_sub_f32_e32 v3, v11, v14
	v_fma_f32 v11, -0.5, v0, v36
	v_add_f32_e32 v1, v1, v3
	v_sub_f32_e32 v0, v5, v17
	v_mov_b32_e32 v3, v11
	v_fmac_f32_e32 v27, 0x3e9e377a, v1
	v_fmac_f32_e32 v26, 0x3e9e377a, v1
	;; [unrolled: 1-line block ×3, first 2 shown]
	v_sub_f32_e32 v1, v9, v12
	v_sub_f32_e32 v2, v4, v8
	;; [unrolled: 1-line block ×3, first 2 shown]
	v_fmac_f32_e32 v11, 0x3f737871, v0
	v_fmac_f32_e32 v3, 0xbf167918, v1
	v_add_f32_e32 v2, v2, v6
	v_fmac_f32_e32 v11, 0x3f167918, v1
	v_fmac_f32_e32 v3, 0x3e9e377a, v2
	;; [unrolled: 1-line block ×3, first 2 shown]
	v_add_f32_e32 v2, v4, v15
	v_fmac_f32_e32 v36, -0.5, v2
	v_mov_b32_e32 v7, v36
	v_fmac_f32_e32 v7, 0x3f737871, v1
	v_fmac_f32_e32 v36, 0xbf737871, v1
	;; [unrolled: 1-line block ×4, first 2 shown]
	v_add_f32_e32 v0, v24, v5
	v_add_f32_e32 v0, v0, v9
	;; [unrolled: 1-line block ×5, first 2 shown]
	v_sub_f32_e32 v2, v8, v4
	v_sub_f32_e32 v6, v16, v15
	v_fma_f32 v14, -0.5, v0, v24
	v_add_f32_e32 v2, v2, v6
	v_sub_f32_e32 v0, v4, v15
	v_mov_b32_e32 v15, v14
	v_fmac_f32_e32 v7, 0x3e9e377a, v2
	v_fmac_f32_e32 v36, 0x3e9e377a, v2
	;; [unrolled: 1-line block ×3, first 2 shown]
	v_sub_f32_e32 v1, v8, v16
	v_sub_f32_e32 v2, v5, v9
	;; [unrolled: 1-line block ×3, first 2 shown]
	v_fmac_f32_e32 v14, 0xbf737871, v0
	v_fmac_f32_e32 v15, 0x3f167918, v1
	v_add_f32_e32 v2, v2, v4
	v_fmac_f32_e32 v14, 0xbf167918, v1
	v_fmac_f32_e32 v15, 0x3e9e377a, v2
	v_fmac_f32_e32 v14, 0x3e9e377a, v2
	v_add_f32_e32 v2, v5, v17
	v_fmac_f32_e32 v24, -0.5, v2
	v_mov_b32_e32 v16, v24
	v_fmac_f32_e32 v16, 0xbf737871, v1
	v_sub_f32_e32 v2, v9, v5
	v_sub_f32_e32 v4, v12, v17
	v_fmac_f32_e32 v24, 0x3f737871, v1
	v_fmac_f32_e32 v16, 0x3f167918, v0
	v_add_f32_e32 v2, v2, v4
	v_fmac_f32_e32 v24, 0xbf167918, v0
	v_fmac_f32_e32 v16, 0x3e9e377a, v2
	;; [unrolled: 1-line block ×3, first 2 shown]
	v_mul_f32_e32 v12, 0xbf167918, v15
	v_mul_f32_e32 v15, 0x3f4f1bbd, v15
	v_fmac_f32_e32 v12, 0x3f4f1bbd, v3
	v_mul_f32_e32 v17, 0xbf737871, v16
	v_mul_f32_e32 v29, 0xbf737871, v24
	;; [unrolled: 1-line block ×3, first 2 shown]
	v_fmac_f32_e32 v15, 0x3f167918, v3
	v_mul_f32_e32 v31, 0x3e9e377a, v16
	v_mul_f32_e32 v24, 0xbe9e377a, v24
	;; [unrolled: 1-line block ×3, first 2 shown]
	v_add_f32_e32 v0, v18, v10
	v_add_f32_e32 v2, v21, v12
	v_fmac_f32_e32 v17, 0x3e9e377a, v7
	v_fmac_f32_e32 v29, 0xbe9e377a, v36
	;; [unrolled: 1-line block ×3, first 2 shown]
	v_add_f32_e32 v1, v20, v28
	v_add_f32_e32 v3, v13, v15
	v_fmac_f32_e32 v31, 0x3f737871, v7
	v_fmac_f32_e32 v24, 0x3f737871, v36
	;; [unrolled: 1-line block ×3, first 2 shown]
	v_add_f32_e32 v4, v25, v17
	v_add_f32_e32 v6, v23, v29
	;; [unrolled: 1-line block ×6, first 2 shown]
	v_sub_f32_e32 v10, v18, v10
	v_sub_f32_e32 v12, v21, v12
	;; [unrolled: 1-line block ×10, first 2 shown]
	ds_write2_b64 v69, v[0:1], v[2:3] offset1:17
	ds_write2_b64 v69, v[4:5], v[6:7] offset0:34 offset1:51
	ds_write2_b64 v69, v[8:9], v[10:11] offset0:68 offset1:85
	;; [unrolled: 1-line block ×4, first 2 shown]
	s_waitcnt lgkmcnt(0)
	s_barrier
	s_and_b64 exec, exec, vcc
	s_cbranch_execz .LBB0_15
; %bb.14:
	global_load_dwordx2 v[0:1], v66, s[6:7]
	ds_read_b64 v[4:5], v69
	v_mad_u64_u32 v[2:3], s[4:5], s2, v48, 0
	v_mad_u64_u32 v[6:7], s[4:5], s0, v65, 0
	s_waitcnt lgkmcnt(0)
	v_mad_u64_u32 v[8:9], s[2:3], s3, v48, v[3:4]
	s_mov_b32 s4, 0x18181818
	s_mov_b32 s5, 0x3f781818
	v_mad_u64_u32 v[9:10], s[2:3], s1, v65, v[7:8]
	v_mov_b32_e32 v11, s13
	s_mul_i32 s3, s1, 0x50
	v_mov_b32_e32 v7, v9
	v_lshlrev_b64 v[6:7], 3, v[6:7]
	s_mul_hi_u32 s8, s0, 0x50
	s_mul_i32 s2, s0, 0x50
	s_add_i32 s3, s8, s3
	s_waitcnt vmcnt(0)
	v_mul_f32_e32 v3, v5, v1
	v_mul_f32_e32 v1, v4, v1
	v_fmac_f32_e32 v3, v4, v0
	v_fma_f32 v4, v0, v5, -v1
	v_cvt_f64_f32_e32 v[0:1], v3
	v_cvt_f64_f32_e32 v[4:5], v4
	v_mov_b32_e32 v3, v8
	v_lshlrev_b64 v[2:3], 3, v[2:3]
	v_mul_f64 v[0:1], v[0:1], s[4:5]
	v_mul_f64 v[4:5], v[4:5], s[4:5]
	v_add_co_u32_e32 v9, vcc, s12, v2
	v_addc_co_u32_e32 v10, vcc, v11, v3, vcc
	v_cvt_f32_f64_e32 v0, v[0:1]
	v_cvt_f32_f64_e32 v1, v[4:5]
	v_add_co_u32_e32 v4, vcc, v9, v6
	v_addc_co_u32_e32 v5, vcc, v10, v7, vcc
	global_store_dwordx2 v[4:5], v[0:1], off
	global_load_dwordx2 v[6:7], v66, s[6:7] offset:80
	ds_read2_b64 v[0:3], v69 offset0:10 offset1:20
	v_add_co_u32_e32 v4, vcc, s2, v4
	s_waitcnt vmcnt(0) lgkmcnt(0)
	v_mul_f32_e32 v8, v1, v7
	v_mul_f32_e32 v7, v0, v7
	v_fmac_f32_e32 v8, v0, v6
	v_fma_f32 v6, v6, v1, -v7
	v_cvt_f64_f32_e32 v[0:1], v8
	v_cvt_f64_f32_e32 v[6:7], v6
	v_mov_b32_e32 v8, s3
	v_addc_co_u32_e32 v5, vcc, v5, v8, vcc
	v_mul_f64 v[0:1], v[0:1], s[4:5]
	v_mul_f64 v[6:7], v[6:7], s[4:5]
	v_cvt_f32_f64_e32 v0, v[0:1]
	v_cvt_f32_f64_e32 v1, v[6:7]
	global_store_dwordx2 v[4:5], v[0:1], off
	global_load_dwordx2 v[0:1], v66, s[6:7] offset:160
	v_add_co_u32_e32 v4, vcc, s2, v4
	s_waitcnt vmcnt(0)
	v_mul_f32_e32 v6, v3, v1
	v_mul_f32_e32 v1, v2, v1
	v_fmac_f32_e32 v6, v2, v0
	v_fma_f32 v2, v0, v3, -v1
	v_cvt_f64_f32_e32 v[0:1], v6
	v_cvt_f64_f32_e32 v[2:3], v2
	v_mov_b32_e32 v6, s3
	v_addc_co_u32_e32 v5, vcc, v5, v6, vcc
	v_mul_f64 v[0:1], v[0:1], s[4:5]
	v_mul_f64 v[2:3], v[2:3], s[4:5]
	v_cvt_f32_f64_e32 v0, v[0:1]
	v_cvt_f32_f64_e32 v1, v[2:3]
	global_store_dwordx2 v[4:5], v[0:1], off
	global_load_dwordx2 v[6:7], v66, s[6:7] offset:240
	ds_read2_b64 v[0:3], v69 offset0:30 offset1:40
	v_add_co_u32_e32 v4, vcc, s2, v4
	s_waitcnt vmcnt(0) lgkmcnt(0)
	v_mul_f32_e32 v8, v1, v7
	v_mul_f32_e32 v7, v0, v7
	v_fmac_f32_e32 v8, v0, v6
	v_fma_f32 v6, v6, v1, -v7
	v_cvt_f64_f32_e32 v[0:1], v8
	v_cvt_f64_f32_e32 v[6:7], v6
	v_mov_b32_e32 v8, s3
	v_addc_co_u32_e32 v5, vcc, v5, v8, vcc
	v_mul_f64 v[0:1], v[0:1], s[4:5]
	v_mul_f64 v[6:7], v[6:7], s[4:5]
	v_cvt_f32_f64_e32 v0, v[0:1]
	v_cvt_f32_f64_e32 v1, v[6:7]
	global_store_dwordx2 v[4:5], v[0:1], off
	global_load_dwordx2 v[0:1], v66, s[6:7] offset:320
	v_add_co_u32_e32 v4, vcc, s2, v4
	s_waitcnt vmcnt(0)
	v_mul_f32_e32 v6, v3, v1
	v_mul_f32_e32 v1, v2, v1
	v_fmac_f32_e32 v6, v2, v0
	v_fma_f32 v2, v0, v3, -v1
	v_cvt_f64_f32_e32 v[0:1], v6
	v_cvt_f64_f32_e32 v[2:3], v2
	v_mov_b32_e32 v6, s3
	v_addc_co_u32_e32 v5, vcc, v5, v6, vcc
	v_mul_f64 v[0:1], v[0:1], s[4:5]
	v_mul_f64 v[2:3], v[2:3], s[4:5]
	v_cvt_f32_f64_e32 v0, v[0:1]
	v_cvt_f32_f64_e32 v1, v[2:3]
	;; [unrolled: 33-line block ×3, first 2 shown]
	global_store_dwordx2 v[4:5], v[0:1], off
	global_load_dwordx2 v[6:7], v66, s[6:7] offset:560
	ds_read2_b64 v[0:3], v69 offset0:70 offset1:80
	v_add_co_u32_e32 v4, vcc, s2, v4
	s_waitcnt vmcnt(0) lgkmcnt(0)
	v_mul_f32_e32 v8, v1, v7
	v_mul_f32_e32 v7, v0, v7
	v_fmac_f32_e32 v8, v0, v6
	v_fma_f32 v6, v6, v1, -v7
	v_cvt_f64_f32_e32 v[0:1], v8
	v_cvt_f64_f32_e32 v[6:7], v6
	v_mov_b32_e32 v8, s3
	v_addc_co_u32_e32 v5, vcc, v5, v8, vcc
	v_mul_f64 v[0:1], v[0:1], s[4:5]
	v_mul_f64 v[6:7], v[6:7], s[4:5]
	v_or_b32_e32 v8, 0x50, v65
	v_cvt_f32_f64_e32 v0, v[0:1]
	v_cvt_f32_f64_e32 v1, v[6:7]
	v_mad_u64_u32 v[6:7], s[8:9], s0, v8, 0
	global_store_dwordx2 v[4:5], v[0:1], off
	global_load_dwordx2 v[0:1], v66, s[6:7] offset:640
	v_mad_u64_u32 v[7:8], s[8:9], s1, v8, v[7:8]
	v_lshlrev_b64 v[6:7], 3, v[6:7]
	s_waitcnt vmcnt(0)
	v_mul_f32_e32 v11, v3, v1
	v_mul_f32_e32 v1, v2, v1
	v_fmac_f32_e32 v11, v2, v0
	v_fma_f32 v2, v0, v3, -v1
	v_cvt_f64_f32_e32 v[0:1], v11
	v_cvt_f64_f32_e32 v[2:3], v2
	v_mul_f64 v[0:1], v[0:1], s[4:5]
	v_mul_f64 v[2:3], v[2:3], s[4:5]
	v_cvt_f32_f64_e32 v0, v[0:1]
	v_cvt_f32_f64_e32 v1, v[2:3]
	v_add_co_u32_e32 v2, vcc, v9, v6
	v_addc_co_u32_e32 v3, vcc, v10, v7, vcc
	global_store_dwordx2 v[2:3], v[0:1], off
	global_load_dwordx2 v[6:7], v66, s[6:7] offset:720
	ds_read2_b64 v[0:3], v69 offset0:90 offset1:100
	s_waitcnt vmcnt(0) lgkmcnt(0)
	v_mul_f32_e32 v8, v1, v7
	v_mul_f32_e32 v7, v0, v7
	v_fmac_f32_e32 v8, v0, v6
	v_fma_f32 v6, v6, v1, -v7
	v_cvt_f64_f32_e32 v[0:1], v8
	v_cvt_f64_f32_e32 v[6:7], v6
	v_mov_b32_e32 v8, 0xa0
	v_mad_u64_u32 v[4:5], s[8:9], s0, v8, v[4:5]
	v_mul_f64 v[0:1], v[0:1], s[4:5]
	v_mul_f64 v[6:7], v[6:7], s[4:5]
	s_mul_i32 s8, s1, 0xa0
	v_add_u32_e32 v5, s8, v5
	v_cvt_f32_f64_e32 v0, v[0:1]
	v_cvt_f32_f64_e32 v1, v[6:7]
	global_store_dwordx2 v[4:5], v[0:1], off
	global_load_dwordx2 v[0:1], v66, s[6:7] offset:800
	v_add_co_u32_e32 v4, vcc, s2, v4
	s_waitcnt vmcnt(0)
	v_mul_f32_e32 v6, v3, v1
	v_mul_f32_e32 v1, v2, v1
	v_fmac_f32_e32 v6, v2, v0
	v_fma_f32 v2, v0, v3, -v1
	v_cvt_f64_f32_e32 v[0:1], v6
	v_cvt_f64_f32_e32 v[2:3], v2
	v_mov_b32_e32 v6, s3
	v_addc_co_u32_e32 v5, vcc, v5, v6, vcc
	v_mul_f64 v[0:1], v[0:1], s[4:5]
	v_mul_f64 v[2:3], v[2:3], s[4:5]
	v_cvt_f32_f64_e32 v0, v[0:1]
	v_cvt_f32_f64_e32 v1, v[2:3]
	global_store_dwordx2 v[4:5], v[0:1], off
	global_load_dwordx2 v[6:7], v66, s[6:7] offset:880
	ds_read2_b64 v[0:3], v69 offset0:110 offset1:120
	v_add_co_u32_e32 v4, vcc, s2, v4
	s_waitcnt vmcnt(0) lgkmcnt(0)
	v_mul_f32_e32 v8, v1, v7
	v_mul_f32_e32 v7, v0, v7
	v_fmac_f32_e32 v8, v0, v6
	v_fma_f32 v6, v6, v1, -v7
	v_cvt_f64_f32_e32 v[0:1], v8
	v_cvt_f64_f32_e32 v[6:7], v6
	v_mov_b32_e32 v8, s3
	v_addc_co_u32_e32 v5, vcc, v5, v8, vcc
	v_mul_f64 v[0:1], v[0:1], s[4:5]
	v_mul_f64 v[6:7], v[6:7], s[4:5]
	v_cvt_f32_f64_e32 v0, v[0:1]
	v_cvt_f32_f64_e32 v1, v[6:7]
	global_store_dwordx2 v[4:5], v[0:1], off
	global_load_dwordx2 v[0:1], v66, s[6:7] offset:960
	v_add_co_u32_e32 v4, vcc, s2, v4
	s_waitcnt vmcnt(0)
	v_mul_f32_e32 v6, v3, v1
	v_mul_f32_e32 v1, v2, v1
	v_fmac_f32_e32 v6, v2, v0
	v_fma_f32 v2, v0, v3, -v1
	v_cvt_f64_f32_e32 v[0:1], v6
	v_cvt_f64_f32_e32 v[2:3], v2
	v_mov_b32_e32 v6, s3
	v_addc_co_u32_e32 v5, vcc, v5, v6, vcc
	v_mul_f64 v[0:1], v[0:1], s[4:5]
	v_mul_f64 v[2:3], v[2:3], s[4:5]
	v_cvt_f32_f64_e32 v0, v[0:1]
	v_cvt_f32_f64_e32 v1, v[2:3]
	global_store_dwordx2 v[4:5], v[0:1], off
	global_load_dwordx2 v[6:7], v66, s[6:7] offset:1040
	ds_read2_b64 v[0:3], v69 offset0:130 offset1:140
	v_add_co_u32_e32 v4, vcc, s2, v4
	s_waitcnt vmcnt(0) lgkmcnt(0)
	v_mul_f32_e32 v8, v1, v7
	v_mul_f32_e32 v7, v0, v7
	v_fmac_f32_e32 v8, v0, v6
	v_fma_f32 v6, v6, v1, -v7
	v_cvt_f64_f32_e32 v[0:1], v8
	v_cvt_f64_f32_e32 v[6:7], v6
	v_mov_b32_e32 v8, s3
	v_addc_co_u32_e32 v5, vcc, v5, v8, vcc
	v_mul_f64 v[0:1], v[0:1], s[4:5]
	v_mul_f64 v[6:7], v[6:7], s[4:5]
	;; [unrolled: 33-line block ×3, first 2 shown]
	v_cvt_f32_f64_e32 v0, v[0:1]
	v_cvt_f32_f64_e32 v1, v[6:7]
	v_or_b32_e32 v6, 0xa0, v65
	global_store_dwordx2 v[4:5], v[0:1], off
	global_load_dwordx2 v[0:1], v66, s[6:7] offset:1280
	v_mad_u64_u32 v[4:5], s[2:3], s0, v6, 0
	v_mad_u64_u32 v[5:6], s[0:1], s1, v6, v[5:6]
	v_lshlrev_b64 v[4:5], 3, v[4:5]
	s_waitcnt vmcnt(0)
	v_mul_f32_e32 v7, v3, v1
	v_mul_f32_e32 v1, v2, v1
	v_fmac_f32_e32 v7, v2, v0
	v_fma_f32 v2, v0, v3, -v1
	v_cvt_f64_f32_e32 v[0:1], v7
	v_cvt_f64_f32_e32 v[2:3], v2
	v_mul_f64 v[0:1], v[0:1], s[4:5]
	v_mul_f64 v[2:3], v[2:3], s[4:5]
	v_cvt_f32_f64_e32 v0, v[0:1]
	v_cvt_f32_f64_e32 v1, v[2:3]
	v_add_co_u32_e32 v2, vcc, v9, v4
	v_addc_co_u32_e32 v3, vcc, v10, v5, vcc
	global_store_dwordx2 v[2:3], v[0:1], off
.LBB0_15:
	s_endpgm
	.section	.rodata,"a",@progbits
	.p2align	6, 0x0
	.amdhsa_kernel bluestein_single_back_len170_dim1_sp_op_CI_CI
		.amdhsa_group_segment_fixed_size 9520
		.amdhsa_private_segment_fixed_size 0
		.amdhsa_kernarg_size 104
		.amdhsa_user_sgpr_count 6
		.amdhsa_user_sgpr_private_segment_buffer 1
		.amdhsa_user_sgpr_dispatch_ptr 0
		.amdhsa_user_sgpr_queue_ptr 0
		.amdhsa_user_sgpr_kernarg_segment_ptr 1
		.amdhsa_user_sgpr_dispatch_id 0
		.amdhsa_user_sgpr_flat_scratch_init 0
		.amdhsa_user_sgpr_private_segment_size 0
		.amdhsa_uses_dynamic_stack 0
		.amdhsa_system_sgpr_private_segment_wavefront_offset 0
		.amdhsa_system_sgpr_workgroup_id_x 1
		.amdhsa_system_sgpr_workgroup_id_y 0
		.amdhsa_system_sgpr_workgroup_id_z 0
		.amdhsa_system_sgpr_workgroup_info 0
		.amdhsa_system_vgpr_workitem_id 0
		.amdhsa_next_free_vgpr 252
		.amdhsa_next_free_sgpr 18
		.amdhsa_reserve_vcc 1
		.amdhsa_reserve_flat_scratch 0
		.amdhsa_float_round_mode_32 0
		.amdhsa_float_round_mode_16_64 0
		.amdhsa_float_denorm_mode_32 3
		.amdhsa_float_denorm_mode_16_64 3
		.amdhsa_dx10_clamp 1
		.amdhsa_ieee_mode 1
		.amdhsa_fp16_overflow 0
		.amdhsa_exception_fp_ieee_invalid_op 0
		.amdhsa_exception_fp_denorm_src 0
		.amdhsa_exception_fp_ieee_div_zero 0
		.amdhsa_exception_fp_ieee_overflow 0
		.amdhsa_exception_fp_ieee_underflow 0
		.amdhsa_exception_fp_ieee_inexact 0
		.amdhsa_exception_int_div_zero 0
	.end_amdhsa_kernel
	.text
.Lfunc_end0:
	.size	bluestein_single_back_len170_dim1_sp_op_CI_CI, .Lfunc_end0-bluestein_single_back_len170_dim1_sp_op_CI_CI
                                        ; -- End function
	.section	.AMDGPU.csdata,"",@progbits
; Kernel info:
; codeLenInByte = 16816
; NumSgprs: 22
; NumVgprs: 252
; ScratchSize: 0
; MemoryBound: 0
; FloatMode: 240
; IeeeMode: 1
; LDSByteSize: 9520 bytes/workgroup (compile time only)
; SGPRBlocks: 2
; VGPRBlocks: 62
; NumSGPRsForWavesPerEU: 22
; NumVGPRsForWavesPerEU: 252
; Occupancy: 1
; WaveLimiterHint : 1
; COMPUTE_PGM_RSRC2:SCRATCH_EN: 0
; COMPUTE_PGM_RSRC2:USER_SGPR: 6
; COMPUTE_PGM_RSRC2:TRAP_HANDLER: 0
; COMPUTE_PGM_RSRC2:TGID_X_EN: 1
; COMPUTE_PGM_RSRC2:TGID_Y_EN: 0
; COMPUTE_PGM_RSRC2:TGID_Z_EN: 0
; COMPUTE_PGM_RSRC2:TIDIG_COMP_CNT: 0
	.type	__hip_cuid_466623f876c0e5,@object ; @__hip_cuid_466623f876c0e5
	.section	.bss,"aw",@nobits
	.globl	__hip_cuid_466623f876c0e5
__hip_cuid_466623f876c0e5:
	.byte	0                               ; 0x0
	.size	__hip_cuid_466623f876c0e5, 1

	.ident	"AMD clang version 19.0.0git (https://github.com/RadeonOpenCompute/llvm-project roc-6.4.0 25133 c7fe45cf4b819c5991fe208aaa96edf142730f1d)"
	.section	".note.GNU-stack","",@progbits
	.addrsig
	.addrsig_sym __hip_cuid_466623f876c0e5
	.amdgpu_metadata
---
amdhsa.kernels:
  - .args:
      - .actual_access:  read_only
        .address_space:  global
        .offset:         0
        .size:           8
        .value_kind:     global_buffer
      - .actual_access:  read_only
        .address_space:  global
        .offset:         8
        .size:           8
        .value_kind:     global_buffer
      - .actual_access:  read_only
        .address_space:  global
        .offset:         16
        .size:           8
        .value_kind:     global_buffer
      - .actual_access:  read_only
        .address_space:  global
        .offset:         24
        .size:           8
        .value_kind:     global_buffer
      - .actual_access:  read_only
        .address_space:  global
        .offset:         32
        .size:           8
        .value_kind:     global_buffer
      - .offset:         40
        .size:           8
        .value_kind:     by_value
      - .address_space:  global
        .offset:         48
        .size:           8
        .value_kind:     global_buffer
      - .address_space:  global
        .offset:         56
        .size:           8
        .value_kind:     global_buffer
      - .address_space:  global
        .offset:         64
        .size:           8
        .value_kind:     global_buffer
      - .address_space:  global
        .offset:         72
        .size:           8
        .value_kind:     global_buffer
      - .offset:         80
        .size:           4
        .value_kind:     by_value
      - .address_space:  global
        .offset:         88
        .size:           8
        .value_kind:     global_buffer
      - .address_space:  global
        .offset:         96
        .size:           8
        .value_kind:     global_buffer
    .group_segment_fixed_size: 9520
    .kernarg_segment_align: 8
    .kernarg_segment_size: 104
    .language:       OpenCL C
    .language_version:
      - 2
      - 0
    .max_flat_workgroup_size: 119
    .name:           bluestein_single_back_len170_dim1_sp_op_CI_CI
    .private_segment_fixed_size: 0
    .sgpr_count:     22
    .sgpr_spill_count: 0
    .symbol:         bluestein_single_back_len170_dim1_sp_op_CI_CI.kd
    .uniform_work_group_size: 1
    .uses_dynamic_stack: false
    .vgpr_count:     252
    .vgpr_spill_count: 0
    .wavefront_size: 64
amdhsa.target:   amdgcn-amd-amdhsa--gfx906
amdhsa.version:
  - 1
  - 2
...

	.end_amdgpu_metadata
